;; amdgpu-corpus repo=ROCm/rocSPARSE kind=compiled arch=gfx1100 opt=O3
	.text
	.amdgcn_target "amdgcn-amd-amdhsa--gfx1100"
	.amdhsa_code_object_version 6
	.section	.text._ZN9rocsparseL33gebsrmm_large_blockdim_kernel_extILi8ELi8ELi2EfEEv20rocsparse_direction_20rocsparse_operation_iiNS_24const_host_device_scalarIT2_EEPKiS7_PKS4_iiS9_lS5_PS4_l21rocsparse_index_base_b,"axG",@progbits,_ZN9rocsparseL33gebsrmm_large_blockdim_kernel_extILi8ELi8ELi2EfEEv20rocsparse_direction_20rocsparse_operation_iiNS_24const_host_device_scalarIT2_EEPKiS7_PKS4_iiS9_lS5_PS4_l21rocsparse_index_base_b,comdat
	.globl	_ZN9rocsparseL33gebsrmm_large_blockdim_kernel_extILi8ELi8ELi2EfEEv20rocsparse_direction_20rocsparse_operation_iiNS_24const_host_device_scalarIT2_EEPKiS7_PKS4_iiS9_lS5_PS4_l21rocsparse_index_base_b ; -- Begin function _ZN9rocsparseL33gebsrmm_large_blockdim_kernel_extILi8ELi8ELi2EfEEv20rocsparse_direction_20rocsparse_operation_iiNS_24const_host_device_scalarIT2_EEPKiS7_PKS4_iiS9_lS5_PS4_l21rocsparse_index_base_b
	.p2align	8
	.type	_ZN9rocsparseL33gebsrmm_large_blockdim_kernel_extILi8ELi8ELi2EfEEv20rocsparse_direction_20rocsparse_operation_iiNS_24const_host_device_scalarIT2_EEPKiS7_PKS4_iiS9_lS5_PS4_l21rocsparse_index_base_b,@function
_ZN9rocsparseL33gebsrmm_large_blockdim_kernel_extILi8ELi8ELi2EfEEv20rocsparse_direction_20rocsparse_operation_iiNS_24const_host_device_scalarIT2_EEPKiS7_PKS4_iiS9_lS5_PS4_l21rocsparse_index_base_b: ; @_ZN9rocsparseL33gebsrmm_large_blockdim_kernel_extILi8ELi8ELi2EfEEv20rocsparse_direction_20rocsparse_operation_iiNS_24const_host_device_scalarIT2_EEPKiS7_PKS4_iiS9_lS5_PS4_l21rocsparse_index_base_b
; %bb.0:
	s_clause 0x2
	s_load_b64 s[12:13], s[0:1], 0x60
	s_load_b64 s[6:7], s[0:1], 0x10
	s_load_b128 s[8:11], s[0:1], 0x40
	s_waitcnt lgkmcnt(0)
	s_bitcmp1_b32 s13, 0
	s_cselect_b32 s2, -1, 0
	s_delay_alu instid0(SALU_CYCLE_1)
	s_and_b32 vcc_lo, exec_lo, s2
	s_xor_b32 s2, s2, -1
	s_cbranch_vccnz .LBB0_2
; %bb.1:
	s_load_b32 s6, s[6:7], 0x0
.LBB0_2:
	s_and_not1_b32 vcc_lo, exec_lo, s2
	s_cbranch_vccnz .LBB0_4
; %bb.3:
	s_load_b32 s10, s[10:11], 0x0
.LBB0_4:
	s_waitcnt lgkmcnt(0)
	v_cmp_eq_f32_e64 s2, s6, 0
	v_cmp_eq_f32_e64 s3, s10, 1.0
	s_mov_b32 s11, 0
	s_delay_alu instid0(VALU_DEP_1) | instskip(NEXT) | instid1(SALU_CYCLE_1)
	s_and_b32 s2, s2, s3
	s_and_b32 vcc_lo, exec_lo, s2
	s_cbranch_vccnz .LBB0_54
; %bb.5:
	s_load_b128 s[20:23], s[0:1], 0x0
	s_waitcnt lgkmcnt(0)
	s_cmp_lt_i32 s14, s22
	s_cselect_b32 s7, -1, 0
	s_cmp_ge_i32 s14, s22
	s_mov_b32 s22, 0
	s_cbranch_scc1 .LBB0_7
; %bb.6:
	s_load_b64 s[4:5], s[0:1], 0x18
	s_mov_b32 s2, s15
	s_ashr_i32 s15, s14, 31
	s_delay_alu instid0(SALU_CYCLE_1)
	s_lshl_b64 s[16:17], s[14:15], 2
	s_mov_b32 s15, s2
	s_waitcnt lgkmcnt(0)
	s_add_u32 s2, s4, s16
	s_addc_u32 s3, s5, s17
	s_load_b64 s[2:3], s[2:3], 0x0
	s_waitcnt lgkmcnt(0)
	s_sub_i32 s22, s2, s12
	s_sub_i32 s11, s3, s12
.LBB0_7:
	s_clause 0x1
	s_load_b64 s[26:27], s[0:1], 0x30
	s_load_b64 s[24:25], s[0:1], 0x50
	v_bfe_u32 v7, v0, 10, 10
	s_mov_b32 s30, 0
	s_cmp_ge_i32 s22, s11
	s_mov_b32 s31, s30
	v_dual_mov_b32 v5, s30 :: v_dual_and_b32 v4, 0x3ff, v0
	v_lshl_add_u32 v2, s15, 4, v7
	v_mov_b32_e32 v6, s31
	s_delay_alu instid0(VALU_DEP_2) | instskip(SKIP_1) | instid1(VALU_DEP_2)
	v_add_nc_u32_e32 v0, 8, v2
	v_cmp_gt_i32_e64 s3, s23, v2
	v_cmp_gt_i32_e64 s2, s23, v0
	s_waitcnt lgkmcnt(0)
	v_cmp_gt_i32_e64 s4, s26, v4
	s_cbranch_scc1 .LBB0_45
; %bb.8:
	v_ashrrev_i32_e32 v3, 31, v2
	v_ashrrev_i32_e32 v1, 31, v0
	v_cmp_gt_i32_e32 vcc_lo, s27, v7
	s_clause 0x1
	s_load_b128 s[16:19], s[0:1], 0x20
	s_load_b64 s[28:29], s[0:1], 0x38
	v_mul_lo_u32 v11, v2, s9
	v_mul_lo_u32 v16, v3, s8
	v_mad_u64_u32 v[12:13], null, v2, s8, 0
	v_mul_lo_u32 v17, v0, s9
	v_mul_lo_u32 v18, v1, s8
	v_mad_u64_u32 v[14:15], null, v0, s8, 0
	s_and_b32 s13, s4, vcc_lo
	s_cmpk_lg_i32 s21, 0x6f
	v_mad_u64_u32 v[5:6], null, v7, s26, v[4:5]
	s_cselect_b32 s15, -1, 0
	s_cmp_eq_u32 s20, 0
	v_mad_u64_u32 v[8:9], null, v4, s27, v[7:8]
	s_cselect_b32 vcc_lo, -1, 0
	s_cmp_gt_i32 s27, 0
	v_lshlrev_b32_e32 v10, 3, v7
	v_lshl_add_u32 v6, v4, 3, v7
	v_add3_u32 v13, v13, v11, v16
	v_add3_u32 v15, v15, v17, v18
	s_cselect_b32 s21, -1, 0
	v_lshlrev_b32_e32 v22, 5, v7
	s_and_b32 s20, s3, s21
	s_and_b32 s21, s2, s21
	s_and_b32 s33, s27, 7
	s_cmp_gt_u32 s27, 7
	v_lshl_add_u32 v20, v6, 2, 0x200
	v_cndmask_b32_e32 v7, v5, v8, vcc_lo
	v_mov_b32_e32 v5, s30
	v_add_lshl_u32 v21, v10, v4, 2
	v_lshlrev_b64 v[8:9], 2, v[2:3]
	v_lshlrev_b64 v[10:11], 2, v[0:1]
	v_lshlrev_b64 v[12:13], 2, v[12:13]
	v_lshlrev_b64 v[14:15], 2, v[14:15]
	v_cmp_gt_i32_e64 s5, s27, v4
	s_cselect_b32 s34, -1, 0
	s_and_b32 s35, s27, 0x7ffffff8
	v_lshl_add_u32 v23, v4, 5, 0x200
	v_add_nc_u32_e32 v24, 0x100, v22
	v_mov_b32_e32 v6, s31
	s_cmp_lg_u32 s33, 0
	s_mul_i32 s30, s27, s26
	s_cselect_b32 s31, -1, 0
	s_branch .LBB0_11
.LBB0_9:                                ;   in Loop: Header=BB0_11 Depth=1
	s_or_b32 exec_lo, exec_lo, s36
.LBB0_10:                               ;   in Loop: Header=BB0_11 Depth=1
	s_delay_alu instid0(SALU_CYCLE_1) | instskip(SKIP_1) | instid1(SALU_CYCLE_1)
	s_or_b32 exec_lo, exec_lo, s23
	s_add_i32 s22, s22, 1
	s_cmp_ge_i32 s22, s11
	s_barrier
	buffer_gl0_inv
	s_cbranch_scc1 .LBB0_45
.LBB0_11:                               ; =>This Loop Header: Depth=1
                                        ;     Child Loop BB0_32 Depth 2
                                        ;     Child Loop BB0_36 Depth 2
	;; [unrolled: 1-line block ×4, first 2 shown]
	s_and_saveexec_b32 s36, s5
	s_cbranch_execz .LBB0_26
; %bb.12:                               ;   in Loop: Header=BB0_11 Depth=1
	s_ashr_i32 s23, s22, 31
	s_delay_alu instid0(SALU_CYCLE_1)
	s_lshl_b64 s[38:39], s[22:23], 2
	s_waitcnt lgkmcnt(0)
	s_add_u32 s38, s16, s38
	s_addc_u32 s39, s17, s39
	s_and_not1_b32 vcc_lo, exec_lo, s15
	s_load_b32 s23, s[38:39], 0x0
	s_waitcnt lgkmcnt(0)
	s_sub_i32 s23, s23, s12
	s_delay_alu instid0(SALU_CYCLE_1) | instskip(NEXT) | instid1(VALU_DEP_1)
	v_mad_u64_u32 v[16:17], null, s23, s27, v[4:5]
	v_ashrrev_i32_e32 v17, 31, v16
	s_cbranch_vccnz .LBB0_18
; %bb.13:                               ;   in Loop: Header=BB0_11 Depth=1
	s_delay_alu instid0(VALU_DEP_1) | instskip(SKIP_2) | instid1(VALU_DEP_1)
	v_mul_lo_u32 v1, v17, s8
	v_mul_lo_u32 v3, v16, s9
	v_mad_u64_u32 v[18:19], null, v16, s8, 0
	v_add3_u32 v19, v19, v3, v1
	s_delay_alu instid0(VALU_DEP_1) | instskip(NEXT) | instid1(VALU_DEP_1)
	v_lshlrev_b64 v[18:19], 2, v[18:19]
	v_add_co_u32 v1, vcc_lo, s28, v18
	s_delay_alu instid0(VALU_DEP_2)
	v_add_co_ci_u32_e32 v3, vcc_lo, s29, v19, vcc_lo
	s_and_saveexec_b32 s23, s3
	s_cbranch_execz .LBB0_15
; %bb.14:                               ;   in Loop: Header=BB0_11 Depth=1
	s_delay_alu instid0(VALU_DEP_2) | instskip(NEXT) | instid1(VALU_DEP_2)
	v_add_co_u32 v18, vcc_lo, v1, v8
	v_add_co_ci_u32_e32 v19, vcc_lo, v3, v9, vcc_lo
	global_load_b32 v18, v[18:19], off
	s_waitcnt vmcnt(0)
	ds_store_b32 v21, v18
.LBB0_15:                               ;   in Loop: Header=BB0_11 Depth=1
	s_or_b32 exec_lo, exec_lo, s23
	s_mov_b32 s37, 0
	s_mov_b32 s23, 0
                                        ; implicit-def: $vgpr18_vgpr19
	s_and_saveexec_b32 s38, s2
	s_delay_alu instid0(SALU_CYCLE_1)
	s_xor_b32 s38, exec_lo, s38
; %bb.16:                               ;   in Loop: Header=BB0_11 Depth=1
	v_add_co_u32 v18, vcc_lo, v1, v10
	v_add_co_ci_u32_e32 v19, vcc_lo, v3, v11, vcc_lo
	s_mov_b32 s23, exec_lo
; %bb.17:                               ;   in Loop: Header=BB0_11 Depth=1
	s_or_b32 exec_lo, exec_lo, s38
	s_delay_alu instid0(SALU_CYCLE_1)
	s_and_b32 vcc_lo, exec_lo, s37
	s_cbranch_vccnz .LBB0_19
	s_branch .LBB0_24
.LBB0_18:                               ;   in Loop: Header=BB0_11 Depth=1
	s_mov_b32 s23, 0
                                        ; implicit-def: $vgpr18_vgpr19
	s_cbranch_execz .LBB0_24
.LBB0_19:                               ;   in Loop: Header=BB0_11 Depth=1
	s_delay_alu instid0(VALU_DEP_1) | instskip(NEXT) | instid1(VALU_DEP_1)
	v_lshlrev_b64 v[16:17], 2, v[16:17]
	v_add_co_u32 v1, vcc_lo, s28, v16
	s_delay_alu instid0(VALU_DEP_2)
	v_add_co_ci_u32_e32 v3, vcc_lo, s29, v17, vcc_lo
	s_and_saveexec_b32 s37, s3
	s_cbranch_execz .LBB0_21
; %bb.20:                               ;   in Loop: Header=BB0_11 Depth=1
	s_delay_alu instid0(VALU_DEP_2) | instskip(NEXT) | instid1(VALU_DEP_2)
	v_add_co_u32 v16, vcc_lo, v1, v12
	v_add_co_ci_u32_e32 v17, vcc_lo, v3, v13, vcc_lo
	global_load_b32 v16, v[16:17], off
	s_waitcnt vmcnt(0)
	ds_store_b32 v21, v16
.LBB0_21:                               ;   in Loop: Header=BB0_11 Depth=1
	s_or_b32 exec_lo, exec_lo, s37
                                        ; implicit-def: $vgpr18_vgpr19
	s_and_saveexec_b32 s37, s2
; %bb.22:                               ;   in Loop: Header=BB0_11 Depth=1
	v_add_co_u32 v18, vcc_lo, v1, v14
	v_add_co_ci_u32_e32 v19, vcc_lo, v3, v15, vcc_lo
	s_or_b32 s23, s23, exec_lo
; %bb.23:                               ;   in Loop: Header=BB0_11 Depth=1
	s_or_b32 exec_lo, exec_lo, s37
.LBB0_24:                               ;   in Loop: Header=BB0_11 Depth=1
	s_delay_alu instid0(SALU_CYCLE_1)
	s_and_b32 exec_lo, exec_lo, s23
	s_cbranch_execz .LBB0_26
; %bb.25:                               ;   in Loop: Header=BB0_11 Depth=1
	global_load_b32 v1, v[18:19], off
	s_waitcnt vmcnt(0)
	ds_store_b32 v21, v1 offset:256
.LBB0_26:                               ;   in Loop: Header=BB0_11 Depth=1
	s_or_b32 exec_lo, exec_lo, s36
	s_and_saveexec_b32 s23, s13
	s_cbranch_execz .LBB0_28
; %bb.27:                               ;   in Loop: Header=BB0_11 Depth=1
	v_mad_u64_u32 v[16:17], null, s30, s22, v[7:8]
	s_delay_alu instid0(VALU_DEP_1) | instskip(NEXT) | instid1(VALU_DEP_1)
	v_ashrrev_i32_e32 v17, 31, v16
	v_lshlrev_b64 v[16:17], 2, v[16:17]
	s_waitcnt lgkmcnt(0)
	s_delay_alu instid0(VALU_DEP_1) | instskip(NEXT) | instid1(VALU_DEP_2)
	v_add_co_u32 v16, vcc_lo, s18, v16
	v_add_co_ci_u32_e32 v17, vcc_lo, s19, v17, vcc_lo
	global_load_b32 v1, v[16:17], off
	s_waitcnt vmcnt(0)
	ds_store_b32 v20, v1
.LBB0_28:                               ;   in Loop: Header=BB0_11 Depth=1
	s_or_b32 exec_lo, exec_lo, s23
	s_waitcnt lgkmcnt(0)
	s_barrier
	buffer_gl0_inv
	s_and_saveexec_b32 s23, s4
	s_cbranch_execz .LBB0_10
; %bb.29:                               ;   in Loop: Header=BB0_11 Depth=1
	s_and_saveexec_b32 s36, s20
	s_cbranch_execz .LBB0_37
; %bb.30:                               ;   in Loop: Header=BB0_11 Depth=1
	s_and_not1_b32 vcc_lo, exec_lo, s34
	s_cbranch_vccnz .LBB0_34
; %bb.31:                               ;   in Loop: Header=BB0_11 Depth=1
	v_mov_b32_e32 v1, v23
	v_mov_b32_e32 v3, v22
	s_mov_b32 s37, 0
	.p2align	6
.LBB0_32:                               ;   Parent Loop BB0_11 Depth=1
                                        ; =>  This Inner Loop Header: Depth=2
	ds_load_b128 v[16:19], v3
	ds_load_b128 v[25:28], v1
	ds_load_b128 v[29:32], v1 offset:16
	ds_load_b128 v[33:36], v3 offset:16
	v_add_nc_u32_e32 v3, 32, v3
	v_add_nc_u32_e32 v1, 32, v1
	s_add_i32 s37, s37, 8
	s_delay_alu instid0(SALU_CYCLE_1) | instskip(SKIP_2) | instid1(VALU_DEP_1)
	s_cmp_lg_u32 s35, s37
	s_waitcnt lgkmcnt(2)
	v_fma_f32 v5, v25, v16, v5
	v_fmac_f32_e32 v5, v26, v17
	s_delay_alu instid0(VALU_DEP_1) | instskip(NEXT) | instid1(VALU_DEP_1)
	v_fmac_f32_e32 v5, v27, v18
	v_fmac_f32_e32 v5, v28, v19
	s_waitcnt lgkmcnt(0)
	s_delay_alu instid0(VALU_DEP_1) | instskip(NEXT) | instid1(VALU_DEP_1)
	v_fmac_f32_e32 v5, v29, v33
	v_fmac_f32_e32 v5, v30, v34
	s_delay_alu instid0(VALU_DEP_1) | instskip(NEXT) | instid1(VALU_DEP_1)
	v_fmac_f32_e32 v5, v31, v35
	v_fmac_f32_e32 v5, v32, v36
	s_cbranch_scc1 .LBB0_32
; %bb.33:                               ;   in Loop: Header=BB0_11 Depth=1
	s_mov_b32 s37, s35
	s_and_not1_b32 vcc_lo, exec_lo, s31
	s_cbranch_vccz .LBB0_35
	s_branch .LBB0_37
.LBB0_34:                               ;   in Loop: Header=BB0_11 Depth=1
	s_mov_b32 s37, 0
	s_and_not1_b32 vcc_lo, exec_lo, s31
	s_cbranch_vccnz .LBB0_37
.LBB0_35:                               ;   in Loop: Header=BB0_11 Depth=1
	s_lshl_b32 s37, s37, 2
	s_delay_alu instid0(SALU_CYCLE_1)
	v_add_nc_u32_e32 v1, s37, v22
	v_add_nc_u32_e32 v3, s37, v23
	s_mov_b32 s37, s33
.LBB0_36:                               ;   Parent Loop BB0_11 Depth=1
                                        ; =>  This Inner Loop Header: Depth=2
	ds_load_b32 v16, v3
	ds_load_b32 v17, v1
	v_add_nc_u32_e32 v1, 4, v1
	v_add_nc_u32_e32 v3, 4, v3
	s_add_i32 s37, s37, -1
	s_delay_alu instid0(SALU_CYCLE_1)
	s_cmp_lg_u32 s37, 0
	s_waitcnt lgkmcnt(0)
	v_fma_f32 v5, v16, v17, v5
	s_cbranch_scc1 .LBB0_36
.LBB0_37:                               ;   in Loop: Header=BB0_11 Depth=1
	s_or_b32 exec_lo, exec_lo, s36
	s_and_saveexec_b32 s36, s21
	s_cbranch_execz .LBB0_9
; %bb.38:                               ;   in Loop: Header=BB0_11 Depth=1
	s_and_not1_b32 vcc_lo, exec_lo, s34
	s_cbranch_vccnz .LBB0_42
; %bb.39:                               ;   in Loop: Header=BB0_11 Depth=1
	v_mov_b32_e32 v1, v23
	v_mov_b32_e32 v3, v24
	s_mov_b32 s37, 0
	.p2align	6
.LBB0_40:                               ;   Parent Loop BB0_11 Depth=1
                                        ; =>  This Inner Loop Header: Depth=2
	ds_load_b128 v[16:19], v3
	ds_load_b128 v[25:28], v1
	ds_load_b128 v[29:32], v1 offset:16
	ds_load_b128 v[33:36], v3 offset:16
	s_add_i32 s37, s37, 8
	v_add_nc_u32_e32 v3, 32, v3
	s_cmp_lg_u32 s35, s37
	v_add_nc_u32_e32 v1, 32, v1
	s_waitcnt lgkmcnt(2)
	v_fma_f32 v6, v25, v16, v6
	s_delay_alu instid0(VALU_DEP_1) | instskip(NEXT) | instid1(VALU_DEP_1)
	v_fmac_f32_e32 v6, v26, v17
	v_fmac_f32_e32 v6, v27, v18
	s_delay_alu instid0(VALU_DEP_1) | instskip(SKIP_1) | instid1(VALU_DEP_1)
	v_fmac_f32_e32 v6, v28, v19
	s_waitcnt lgkmcnt(0)
	v_fmac_f32_e32 v6, v29, v33
	s_delay_alu instid0(VALU_DEP_1) | instskip(NEXT) | instid1(VALU_DEP_1)
	v_fmac_f32_e32 v6, v30, v34
	v_fmac_f32_e32 v6, v31, v35
	s_delay_alu instid0(VALU_DEP_1)
	v_fmac_f32_e32 v6, v32, v36
	s_cbranch_scc1 .LBB0_40
; %bb.41:                               ;   in Loop: Header=BB0_11 Depth=1
	s_mov_b32 s37, s35
	s_and_not1_b32 vcc_lo, exec_lo, s31
	s_cbranch_vccz .LBB0_43
	s_branch .LBB0_9
.LBB0_42:                               ;   in Loop: Header=BB0_11 Depth=1
	s_mov_b32 s37, 0
	s_and_not1_b32 vcc_lo, exec_lo, s31
	s_cbranch_vccnz .LBB0_9
.LBB0_43:                               ;   in Loop: Header=BB0_11 Depth=1
	s_lshl_b32 s37, s37, 2
	s_delay_alu instid0(SALU_CYCLE_1)
	v_add_nc_u32_e32 v1, s37, v24
	v_add_nc_u32_e32 v3, s37, v23
	s_mov_b32 s37, s33
.LBB0_44:                               ;   Parent Loop BB0_11 Depth=1
                                        ; =>  This Inner Loop Header: Depth=2
	ds_load_b32 v16, v3
	ds_load_b32 v17, v1
	v_add_nc_u32_e32 v1, 4, v1
	v_add_nc_u32_e32 v3, 4, v3
	s_add_i32 s37, s37, -1
	s_delay_alu instid0(SALU_CYCLE_1)
	s_cmp_lg_u32 s37, 0
	s_waitcnt lgkmcnt(0)
	v_fma_f32 v6, v16, v17, v6
	s_cbranch_scc1 .LBB0_44
	s_branch .LBB0_9
.LBB0_45:
	s_delay_alu instid0(VALU_DEP_1) | instskip(NEXT) | instid1(SALU_CYCLE_1)
	s_and_b32 s4, s7, s4
	s_and_saveexec_b32 s5, s4
	s_cbranch_execz .LBB0_54
; %bb.46:
	v_mad_u64_u32 v[7:8], null, s14, s26, v[4:5]
	s_load_b64 s[0:1], s[0:1], 0x58
	v_cmp_neq_f32_e64 s4, s10, 0
	s_delay_alu instid0(VALU_DEP_2) | instskip(NEXT) | instid1(VALU_DEP_1)
	v_ashrrev_i32_e32 v8, 31, v7
	v_lshlrev_b64 v[3:4], 2, v[7:8]
	s_delay_alu instid0(VALU_DEP_1) | instskip(NEXT) | instid1(VALU_DEP_2)
	v_add_co_u32 v1, vcc_lo, s24, v3
	v_add_co_ci_u32_e32 v3, vcc_lo, s25, v4, vcc_lo
	s_and_saveexec_b32 s5, s3
	s_cbranch_execz .LBB0_50
; %bb.47:
	v_ashrrev_i32_e32 v4, 31, v2
	s_waitcnt lgkmcnt(0)
	v_mul_lo_u32 v7, v2, s1
	s_and_b32 vcc_lo, exec_lo, s4
	s_delay_alu instid0(VALU_DEP_2)
	v_mul_lo_u32 v8, v4, s0
	v_mul_f32_e32 v4, s6, v5
	s_cbranch_vccz .LBB0_55
; %bb.48:
	v_mad_u64_u32 v[9:10], null, v2, s0, 0
	s_delay_alu instid0(VALU_DEP_1) | instskip(NEXT) | instid1(VALU_DEP_1)
	v_add3_u32 v10, v10, v7, v8
	v_lshlrev_b64 v[9:10], 2, v[9:10]
	s_delay_alu instid0(VALU_DEP_1) | instskip(NEXT) | instid1(VALU_DEP_2)
	v_add_co_u32 v9, vcc_lo, v1, v9
	v_add_co_ci_u32_e32 v10, vcc_lo, v3, v10, vcc_lo
	global_load_b32 v5, v[9:10], off
	s_waitcnt vmcnt(0)
	v_fma_f32 v5, s10, v5, v4
	global_store_b32 v[9:10], v5, off
	s_cbranch_execnz .LBB0_50
.LBB0_49:
	v_mad_u64_u32 v[9:10], null, v2, s0, 0
	s_delay_alu instid0(VALU_DEP_1) | instskip(NEXT) | instid1(VALU_DEP_1)
	v_add3_u32 v10, v10, v7, v8
	v_lshlrev_b64 v[7:8], 2, v[9:10]
	s_delay_alu instid0(VALU_DEP_1) | instskip(NEXT) | instid1(VALU_DEP_2)
	v_add_co_u32 v7, vcc_lo, v1, v7
	v_add_co_ci_u32_e32 v8, vcc_lo, v3, v8, vcc_lo
	global_store_b32 v[7:8], v4, off
.LBB0_50:
	s_or_b32 exec_lo, exec_lo, s5
	s_delay_alu instid0(SALU_CYCLE_1)
	s_and_b32 exec_lo, exec_lo, s2
	s_cbranch_execz .LBB0_54
; %bb.51:
	v_ashrrev_i32_e32 v2, 31, v0
	s_waitcnt lgkmcnt(0)
	v_mul_lo_u32 v4, v0, s1
	s_and_not1_b32 vcc_lo, exec_lo, s4
	s_delay_alu instid0(VALU_DEP_2)
	v_mul_lo_u32 v5, v2, s0
	v_mul_f32_e32 v2, s6, v6
	s_cbranch_vccnz .LBB0_56
; %bb.52:
	v_mad_u64_u32 v[6:7], null, v0, s0, 0
	s_delay_alu instid0(VALU_DEP_1) | instskip(NEXT) | instid1(VALU_DEP_1)
	v_add3_u32 v7, v7, v4, v5
	v_lshlrev_b64 v[6:7], 2, v[6:7]
	s_delay_alu instid0(VALU_DEP_1) | instskip(NEXT) | instid1(VALU_DEP_2)
	v_add_co_u32 v6, vcc_lo, v1, v6
	v_add_co_ci_u32_e32 v7, vcc_lo, v3, v7, vcc_lo
	global_load_b32 v8, v[6:7], off
	s_waitcnt vmcnt(0)
	v_fma_f32 v8, s10, v8, v2
	global_store_b32 v[6:7], v8, off
	s_cbranch_execnz .LBB0_54
.LBB0_53:
	v_mad_u64_u32 v[6:7], null, v0, s0, 0
	s_delay_alu instid0(VALU_DEP_1) | instskip(NEXT) | instid1(VALU_DEP_1)
	v_add3_u32 v7, v7, v4, v5
	v_lshlrev_b64 v[4:5], 2, v[6:7]
	s_delay_alu instid0(VALU_DEP_1) | instskip(NEXT) | instid1(VALU_DEP_2)
	v_add_co_u32 v0, vcc_lo, v1, v4
	v_add_co_ci_u32_e32 v1, vcc_lo, v3, v5, vcc_lo
	global_store_b32 v[0:1], v2, off
.LBB0_54:
	s_nop 0
	s_sendmsg sendmsg(MSG_DEALLOC_VGPRS)
	s_endpgm
.LBB0_55:
	s_branch .LBB0_49
.LBB0_56:
	s_branch .LBB0_53
	.section	.rodata,"a",@progbits
	.p2align	6, 0x0
	.amdhsa_kernel _ZN9rocsparseL33gebsrmm_large_blockdim_kernel_extILi8ELi8ELi2EfEEv20rocsparse_direction_20rocsparse_operation_iiNS_24const_host_device_scalarIT2_EEPKiS7_PKS4_iiS9_lS5_PS4_l21rocsparse_index_base_b
		.amdhsa_group_segment_fixed_size 768
		.amdhsa_private_segment_fixed_size 0
		.amdhsa_kernarg_size 104
		.amdhsa_user_sgpr_count 14
		.amdhsa_user_sgpr_dispatch_ptr 0
		.amdhsa_user_sgpr_queue_ptr 0
		.amdhsa_user_sgpr_kernarg_segment_ptr 1
		.amdhsa_user_sgpr_dispatch_id 0
		.amdhsa_user_sgpr_private_segment_size 0
		.amdhsa_wavefront_size32 1
		.amdhsa_uses_dynamic_stack 0
		.amdhsa_enable_private_segment 0
		.amdhsa_system_sgpr_workgroup_id_x 1
		.amdhsa_system_sgpr_workgroup_id_y 1
		.amdhsa_system_sgpr_workgroup_id_z 0
		.amdhsa_system_sgpr_workgroup_info 0
		.amdhsa_system_vgpr_workitem_id 1
		.amdhsa_next_free_vgpr 37
		.amdhsa_next_free_sgpr 40
		.amdhsa_reserve_vcc 1
		.amdhsa_float_round_mode_32 0
		.amdhsa_float_round_mode_16_64 0
		.amdhsa_float_denorm_mode_32 3
		.amdhsa_float_denorm_mode_16_64 3
		.amdhsa_dx10_clamp 1
		.amdhsa_ieee_mode 1
		.amdhsa_fp16_overflow 0
		.amdhsa_workgroup_processor_mode 1
		.amdhsa_memory_ordered 1
		.amdhsa_forward_progress 0
		.amdhsa_shared_vgpr_count 0
		.amdhsa_exception_fp_ieee_invalid_op 0
		.amdhsa_exception_fp_denorm_src 0
		.amdhsa_exception_fp_ieee_div_zero 0
		.amdhsa_exception_fp_ieee_overflow 0
		.amdhsa_exception_fp_ieee_underflow 0
		.amdhsa_exception_fp_ieee_inexact 0
		.amdhsa_exception_int_div_zero 0
	.end_amdhsa_kernel
	.section	.text._ZN9rocsparseL33gebsrmm_large_blockdim_kernel_extILi8ELi8ELi2EfEEv20rocsparse_direction_20rocsparse_operation_iiNS_24const_host_device_scalarIT2_EEPKiS7_PKS4_iiS9_lS5_PS4_l21rocsparse_index_base_b,"axG",@progbits,_ZN9rocsparseL33gebsrmm_large_blockdim_kernel_extILi8ELi8ELi2EfEEv20rocsparse_direction_20rocsparse_operation_iiNS_24const_host_device_scalarIT2_EEPKiS7_PKS4_iiS9_lS5_PS4_l21rocsparse_index_base_b,comdat
.Lfunc_end0:
	.size	_ZN9rocsparseL33gebsrmm_large_blockdim_kernel_extILi8ELi8ELi2EfEEv20rocsparse_direction_20rocsparse_operation_iiNS_24const_host_device_scalarIT2_EEPKiS7_PKS4_iiS9_lS5_PS4_l21rocsparse_index_base_b, .Lfunc_end0-_ZN9rocsparseL33gebsrmm_large_blockdim_kernel_extILi8ELi8ELi2EfEEv20rocsparse_direction_20rocsparse_operation_iiNS_24const_host_device_scalarIT2_EEPKiS7_PKS4_iiS9_lS5_PS4_l21rocsparse_index_base_b
                                        ; -- End function
	.section	.AMDGPU.csdata,"",@progbits
; Kernel info:
; codeLenInByte = 2068
; NumSgprs: 42
; NumVgprs: 37
; ScratchSize: 0
; MemoryBound: 0
; FloatMode: 240
; IeeeMode: 1
; LDSByteSize: 768 bytes/workgroup (compile time only)
; SGPRBlocks: 5
; VGPRBlocks: 4
; NumSGPRsForWavesPerEU: 42
; NumVGPRsForWavesPerEU: 37
; Occupancy: 16
; WaveLimiterHint : 1
; COMPUTE_PGM_RSRC2:SCRATCH_EN: 0
; COMPUTE_PGM_RSRC2:USER_SGPR: 14
; COMPUTE_PGM_RSRC2:TRAP_HANDLER: 0
; COMPUTE_PGM_RSRC2:TGID_X_EN: 1
; COMPUTE_PGM_RSRC2:TGID_Y_EN: 1
; COMPUTE_PGM_RSRC2:TGID_Z_EN: 0
; COMPUTE_PGM_RSRC2:TIDIG_COMP_CNT: 1
	.section	.text._ZN9rocsparseL33gebsrmm_large_blockdim_kernel_extILi16ELi16ELi2EfEEv20rocsparse_direction_20rocsparse_operation_iiNS_24const_host_device_scalarIT2_EEPKiS7_PKS4_iiS9_lS5_PS4_l21rocsparse_index_base_b,"axG",@progbits,_ZN9rocsparseL33gebsrmm_large_blockdim_kernel_extILi16ELi16ELi2EfEEv20rocsparse_direction_20rocsparse_operation_iiNS_24const_host_device_scalarIT2_EEPKiS7_PKS4_iiS9_lS5_PS4_l21rocsparse_index_base_b,comdat
	.globl	_ZN9rocsparseL33gebsrmm_large_blockdim_kernel_extILi16ELi16ELi2EfEEv20rocsparse_direction_20rocsparse_operation_iiNS_24const_host_device_scalarIT2_EEPKiS7_PKS4_iiS9_lS5_PS4_l21rocsparse_index_base_b ; -- Begin function _ZN9rocsparseL33gebsrmm_large_blockdim_kernel_extILi16ELi16ELi2EfEEv20rocsparse_direction_20rocsparse_operation_iiNS_24const_host_device_scalarIT2_EEPKiS7_PKS4_iiS9_lS5_PS4_l21rocsparse_index_base_b
	.p2align	8
	.type	_ZN9rocsparseL33gebsrmm_large_blockdim_kernel_extILi16ELi16ELi2EfEEv20rocsparse_direction_20rocsparse_operation_iiNS_24const_host_device_scalarIT2_EEPKiS7_PKS4_iiS9_lS5_PS4_l21rocsparse_index_base_b,@function
_ZN9rocsparseL33gebsrmm_large_blockdim_kernel_extILi16ELi16ELi2EfEEv20rocsparse_direction_20rocsparse_operation_iiNS_24const_host_device_scalarIT2_EEPKiS7_PKS4_iiS9_lS5_PS4_l21rocsparse_index_base_b: ; @_ZN9rocsparseL33gebsrmm_large_blockdim_kernel_extILi16ELi16ELi2EfEEv20rocsparse_direction_20rocsparse_operation_iiNS_24const_host_device_scalarIT2_EEPKiS7_PKS4_iiS9_lS5_PS4_l21rocsparse_index_base_b
; %bb.0:
	s_clause 0x2
	s_load_b64 s[12:13], s[0:1], 0x60
	s_load_b64 s[6:7], s[0:1], 0x10
	s_load_b128 s[8:11], s[0:1], 0x40
	s_waitcnt lgkmcnt(0)
	s_bitcmp1_b32 s13, 0
	s_cselect_b32 s2, -1, 0
	s_delay_alu instid0(SALU_CYCLE_1)
	s_and_b32 vcc_lo, exec_lo, s2
	s_xor_b32 s2, s2, -1
	s_cbranch_vccnz .LBB1_2
; %bb.1:
	s_load_b32 s6, s[6:7], 0x0
.LBB1_2:
	s_and_not1_b32 vcc_lo, exec_lo, s2
	s_cbranch_vccnz .LBB1_4
; %bb.3:
	s_load_b32 s10, s[10:11], 0x0
.LBB1_4:
	s_waitcnt lgkmcnt(0)
	v_cmp_eq_f32_e64 s2, s6, 0
	v_cmp_eq_f32_e64 s3, s10, 1.0
	s_mov_b32 s11, 0
	s_delay_alu instid0(VALU_DEP_1) | instskip(NEXT) | instid1(SALU_CYCLE_1)
	s_and_b32 s2, s2, s3
	s_and_b32 vcc_lo, exec_lo, s2
	s_cbranch_vccnz .LBB1_54
; %bb.5:
	s_load_b128 s[20:23], s[0:1], 0x0
	s_waitcnt lgkmcnt(0)
	s_cmp_lt_i32 s14, s22
	s_cselect_b32 s7, -1, 0
	s_cmp_ge_i32 s14, s22
	s_mov_b32 s22, 0
	s_cbranch_scc1 .LBB1_7
; %bb.6:
	s_load_b64 s[4:5], s[0:1], 0x18
	s_mov_b32 s2, s15
	s_ashr_i32 s15, s14, 31
	s_delay_alu instid0(SALU_CYCLE_1)
	s_lshl_b64 s[16:17], s[14:15], 2
	s_mov_b32 s15, s2
	s_waitcnt lgkmcnt(0)
	s_add_u32 s2, s4, s16
	s_addc_u32 s3, s5, s17
	s_load_b64 s[2:3], s[2:3], 0x0
	s_waitcnt lgkmcnt(0)
	s_sub_i32 s22, s2, s12
	s_sub_i32 s11, s3, s12
.LBB1_7:
	s_clause 0x1
	s_load_b64 s[26:27], s[0:1], 0x30
	s_load_b64 s[24:25], s[0:1], 0x50
	v_bfe_u32 v7, v0, 10, 10
	s_mov_b32 s30, 0
	s_cmp_ge_i32 s22, s11
	s_mov_b32 s31, s30
	v_dual_mov_b32 v5, s30 :: v_dual_and_b32 v4, 0x3ff, v0
	v_lshl_add_u32 v2, s15, 5, v7
	v_mov_b32_e32 v6, s31
	s_delay_alu instid0(VALU_DEP_2) | instskip(SKIP_1) | instid1(VALU_DEP_2)
	v_add_nc_u32_e32 v0, 16, v2
	v_cmp_gt_i32_e64 s3, s23, v2
	v_cmp_gt_i32_e64 s2, s23, v0
	s_waitcnt lgkmcnt(0)
	v_cmp_gt_i32_e64 s4, s26, v4
	s_cbranch_scc1 .LBB1_45
; %bb.8:
	v_ashrrev_i32_e32 v3, 31, v2
	v_ashrrev_i32_e32 v1, 31, v0
	v_cmp_gt_i32_e32 vcc_lo, s27, v7
	s_clause 0x1
	s_load_b128 s[16:19], s[0:1], 0x20
	s_load_b64 s[28:29], s[0:1], 0x38
	v_mul_lo_u32 v11, v2, s9
	v_mul_lo_u32 v16, v3, s8
	v_mad_u64_u32 v[12:13], null, v2, s8, 0
	v_mul_lo_u32 v17, v0, s9
	v_mul_lo_u32 v18, v1, s8
	v_mad_u64_u32 v[14:15], null, v0, s8, 0
	s_and_b32 s13, s4, vcc_lo
	s_cmpk_lg_i32 s21, 0x6f
	v_mad_u64_u32 v[5:6], null, v7, s26, v[4:5]
	s_cselect_b32 s15, -1, 0
	s_cmp_eq_u32 s20, 0
	v_mad_u64_u32 v[8:9], null, v4, s27, v[7:8]
	s_cselect_b32 vcc_lo, -1, 0
	s_cmp_gt_i32 s27, 0
	v_lshlrev_b32_e32 v10, 4, v7
	v_lshl_add_u32 v6, v4, 4, v7
	v_add3_u32 v13, v13, v11, v16
	v_add3_u32 v15, v15, v17, v18
	s_cselect_b32 s21, -1, 0
	v_lshlrev_b32_e32 v22, 6, v7
	s_and_b32 s20, s3, s21
	s_and_b32 s21, s2, s21
	;; [unrolled: 1-line block ×3, first 2 shown]
	s_cmp_gt_u32 s27, 7
	v_lshl_add_u32 v20, v6, 2, 0x800
	v_cndmask_b32_e32 v7, v5, v8, vcc_lo
	v_mov_b32_e32 v5, s30
	v_add_lshl_u32 v21, v10, v4, 2
	v_lshlrev_b64 v[8:9], 2, v[2:3]
	v_lshlrev_b64 v[10:11], 2, v[0:1]
	;; [unrolled: 1-line block ×4, first 2 shown]
	v_cmp_gt_i32_e64 s5, s27, v4
	s_cselect_b32 s34, -1, 0
	s_and_b32 s35, s27, 0x7ffffff8
	v_lshl_add_u32 v23, v4, 6, 0x800
	v_add_nc_u32_e32 v24, 0x400, v22
	v_mov_b32_e32 v6, s31
	s_cmp_lg_u32 s33, 0
	s_mul_i32 s30, s27, s26
	s_cselect_b32 s31, -1, 0
	s_branch .LBB1_11
.LBB1_9:                                ;   in Loop: Header=BB1_11 Depth=1
	s_or_b32 exec_lo, exec_lo, s36
.LBB1_10:                               ;   in Loop: Header=BB1_11 Depth=1
	s_delay_alu instid0(SALU_CYCLE_1) | instskip(SKIP_1) | instid1(SALU_CYCLE_1)
	s_or_b32 exec_lo, exec_lo, s23
	s_add_i32 s22, s22, 1
	s_cmp_ge_i32 s22, s11
	s_barrier
	buffer_gl0_inv
	s_cbranch_scc1 .LBB1_45
.LBB1_11:                               ; =>This Loop Header: Depth=1
                                        ;     Child Loop BB1_32 Depth 2
                                        ;     Child Loop BB1_36 Depth 2
	;; [unrolled: 1-line block ×4, first 2 shown]
	s_and_saveexec_b32 s36, s5
	s_cbranch_execz .LBB1_26
; %bb.12:                               ;   in Loop: Header=BB1_11 Depth=1
	s_ashr_i32 s23, s22, 31
	s_delay_alu instid0(SALU_CYCLE_1)
	s_lshl_b64 s[38:39], s[22:23], 2
	s_waitcnt lgkmcnt(0)
	s_add_u32 s38, s16, s38
	s_addc_u32 s39, s17, s39
	s_and_not1_b32 vcc_lo, exec_lo, s15
	s_load_b32 s23, s[38:39], 0x0
	s_waitcnt lgkmcnt(0)
	s_sub_i32 s23, s23, s12
	s_delay_alu instid0(SALU_CYCLE_1) | instskip(NEXT) | instid1(VALU_DEP_1)
	v_mad_u64_u32 v[16:17], null, s23, s27, v[4:5]
	v_ashrrev_i32_e32 v17, 31, v16
	s_cbranch_vccnz .LBB1_18
; %bb.13:                               ;   in Loop: Header=BB1_11 Depth=1
	s_delay_alu instid0(VALU_DEP_1) | instskip(SKIP_2) | instid1(VALU_DEP_1)
	v_mul_lo_u32 v1, v17, s8
	v_mul_lo_u32 v3, v16, s9
	v_mad_u64_u32 v[18:19], null, v16, s8, 0
	v_add3_u32 v19, v19, v3, v1
	s_delay_alu instid0(VALU_DEP_1) | instskip(NEXT) | instid1(VALU_DEP_1)
	v_lshlrev_b64 v[18:19], 2, v[18:19]
	v_add_co_u32 v1, vcc_lo, s28, v18
	s_delay_alu instid0(VALU_DEP_2)
	v_add_co_ci_u32_e32 v3, vcc_lo, s29, v19, vcc_lo
	s_and_saveexec_b32 s23, s3
	s_cbranch_execz .LBB1_15
; %bb.14:                               ;   in Loop: Header=BB1_11 Depth=1
	s_delay_alu instid0(VALU_DEP_2) | instskip(NEXT) | instid1(VALU_DEP_2)
	v_add_co_u32 v18, vcc_lo, v1, v8
	v_add_co_ci_u32_e32 v19, vcc_lo, v3, v9, vcc_lo
	global_load_b32 v18, v[18:19], off
	s_waitcnt vmcnt(0)
	ds_store_b32 v21, v18
.LBB1_15:                               ;   in Loop: Header=BB1_11 Depth=1
	s_or_b32 exec_lo, exec_lo, s23
	s_mov_b32 s37, 0
	s_mov_b32 s23, 0
                                        ; implicit-def: $vgpr18_vgpr19
	s_and_saveexec_b32 s38, s2
	s_delay_alu instid0(SALU_CYCLE_1)
	s_xor_b32 s38, exec_lo, s38
; %bb.16:                               ;   in Loop: Header=BB1_11 Depth=1
	v_add_co_u32 v18, vcc_lo, v1, v10
	v_add_co_ci_u32_e32 v19, vcc_lo, v3, v11, vcc_lo
	s_mov_b32 s23, exec_lo
; %bb.17:                               ;   in Loop: Header=BB1_11 Depth=1
	s_or_b32 exec_lo, exec_lo, s38
	s_delay_alu instid0(SALU_CYCLE_1)
	s_and_b32 vcc_lo, exec_lo, s37
	s_cbranch_vccnz .LBB1_19
	s_branch .LBB1_24
.LBB1_18:                               ;   in Loop: Header=BB1_11 Depth=1
	s_mov_b32 s23, 0
                                        ; implicit-def: $vgpr18_vgpr19
	s_cbranch_execz .LBB1_24
.LBB1_19:                               ;   in Loop: Header=BB1_11 Depth=1
	s_delay_alu instid0(VALU_DEP_1) | instskip(NEXT) | instid1(VALU_DEP_1)
	v_lshlrev_b64 v[16:17], 2, v[16:17]
	v_add_co_u32 v1, vcc_lo, s28, v16
	s_delay_alu instid0(VALU_DEP_2)
	v_add_co_ci_u32_e32 v3, vcc_lo, s29, v17, vcc_lo
	s_and_saveexec_b32 s37, s3
	s_cbranch_execz .LBB1_21
; %bb.20:                               ;   in Loop: Header=BB1_11 Depth=1
	s_delay_alu instid0(VALU_DEP_2) | instskip(NEXT) | instid1(VALU_DEP_2)
	v_add_co_u32 v16, vcc_lo, v1, v12
	v_add_co_ci_u32_e32 v17, vcc_lo, v3, v13, vcc_lo
	global_load_b32 v16, v[16:17], off
	s_waitcnt vmcnt(0)
	ds_store_b32 v21, v16
.LBB1_21:                               ;   in Loop: Header=BB1_11 Depth=1
	s_or_b32 exec_lo, exec_lo, s37
                                        ; implicit-def: $vgpr18_vgpr19
	s_and_saveexec_b32 s37, s2
; %bb.22:                               ;   in Loop: Header=BB1_11 Depth=1
	v_add_co_u32 v18, vcc_lo, v1, v14
	v_add_co_ci_u32_e32 v19, vcc_lo, v3, v15, vcc_lo
	s_or_b32 s23, s23, exec_lo
; %bb.23:                               ;   in Loop: Header=BB1_11 Depth=1
	s_or_b32 exec_lo, exec_lo, s37
.LBB1_24:                               ;   in Loop: Header=BB1_11 Depth=1
	s_delay_alu instid0(SALU_CYCLE_1)
	s_and_b32 exec_lo, exec_lo, s23
	s_cbranch_execz .LBB1_26
; %bb.25:                               ;   in Loop: Header=BB1_11 Depth=1
	global_load_b32 v1, v[18:19], off
	s_waitcnt vmcnt(0)
	ds_store_b32 v21, v1 offset:1024
.LBB1_26:                               ;   in Loop: Header=BB1_11 Depth=1
	s_or_b32 exec_lo, exec_lo, s36
	s_and_saveexec_b32 s23, s13
	s_cbranch_execz .LBB1_28
; %bb.27:                               ;   in Loop: Header=BB1_11 Depth=1
	v_mad_u64_u32 v[16:17], null, s30, s22, v[7:8]
	s_delay_alu instid0(VALU_DEP_1) | instskip(NEXT) | instid1(VALU_DEP_1)
	v_ashrrev_i32_e32 v17, 31, v16
	v_lshlrev_b64 v[16:17], 2, v[16:17]
	s_waitcnt lgkmcnt(0)
	s_delay_alu instid0(VALU_DEP_1) | instskip(NEXT) | instid1(VALU_DEP_2)
	v_add_co_u32 v16, vcc_lo, s18, v16
	v_add_co_ci_u32_e32 v17, vcc_lo, s19, v17, vcc_lo
	global_load_b32 v1, v[16:17], off
	s_waitcnt vmcnt(0)
	ds_store_b32 v20, v1
.LBB1_28:                               ;   in Loop: Header=BB1_11 Depth=1
	s_or_b32 exec_lo, exec_lo, s23
	s_waitcnt lgkmcnt(0)
	s_barrier
	buffer_gl0_inv
	s_and_saveexec_b32 s23, s4
	s_cbranch_execz .LBB1_10
; %bb.29:                               ;   in Loop: Header=BB1_11 Depth=1
	s_and_saveexec_b32 s36, s20
	s_cbranch_execz .LBB1_37
; %bb.30:                               ;   in Loop: Header=BB1_11 Depth=1
	s_and_not1_b32 vcc_lo, exec_lo, s34
	s_cbranch_vccnz .LBB1_34
; %bb.31:                               ;   in Loop: Header=BB1_11 Depth=1
	v_mov_b32_e32 v1, v23
	v_mov_b32_e32 v3, v22
	s_mov_b32 s37, 0
	.p2align	6
.LBB1_32:                               ;   Parent Loop BB1_11 Depth=1
                                        ; =>  This Inner Loop Header: Depth=2
	ds_load_b128 v[16:19], v3
	ds_load_b128 v[25:28], v1
	ds_load_b128 v[29:32], v1 offset:16
	ds_load_b128 v[33:36], v3 offset:16
	v_add_nc_u32_e32 v3, 32, v3
	v_add_nc_u32_e32 v1, 32, v1
	s_add_i32 s37, s37, 8
	s_delay_alu instid0(SALU_CYCLE_1) | instskip(SKIP_2) | instid1(VALU_DEP_1)
	s_cmp_lg_u32 s35, s37
	s_waitcnt lgkmcnt(2)
	v_fma_f32 v5, v25, v16, v5
	v_fmac_f32_e32 v5, v26, v17
	s_delay_alu instid0(VALU_DEP_1) | instskip(NEXT) | instid1(VALU_DEP_1)
	v_fmac_f32_e32 v5, v27, v18
	v_fmac_f32_e32 v5, v28, v19
	s_waitcnt lgkmcnt(0)
	s_delay_alu instid0(VALU_DEP_1) | instskip(NEXT) | instid1(VALU_DEP_1)
	v_fmac_f32_e32 v5, v29, v33
	v_fmac_f32_e32 v5, v30, v34
	s_delay_alu instid0(VALU_DEP_1) | instskip(NEXT) | instid1(VALU_DEP_1)
	v_fmac_f32_e32 v5, v31, v35
	v_fmac_f32_e32 v5, v32, v36
	s_cbranch_scc1 .LBB1_32
; %bb.33:                               ;   in Loop: Header=BB1_11 Depth=1
	s_mov_b32 s37, s35
	s_and_not1_b32 vcc_lo, exec_lo, s31
	s_cbranch_vccz .LBB1_35
	s_branch .LBB1_37
.LBB1_34:                               ;   in Loop: Header=BB1_11 Depth=1
	s_mov_b32 s37, 0
	s_and_not1_b32 vcc_lo, exec_lo, s31
	s_cbranch_vccnz .LBB1_37
.LBB1_35:                               ;   in Loop: Header=BB1_11 Depth=1
	s_lshl_b32 s37, s37, 2
	s_delay_alu instid0(SALU_CYCLE_1)
	v_add_nc_u32_e32 v1, s37, v22
	v_add_nc_u32_e32 v3, s37, v23
	s_mov_b32 s37, s33
.LBB1_36:                               ;   Parent Loop BB1_11 Depth=1
                                        ; =>  This Inner Loop Header: Depth=2
	ds_load_b32 v16, v3
	ds_load_b32 v17, v1
	v_add_nc_u32_e32 v1, 4, v1
	v_add_nc_u32_e32 v3, 4, v3
	s_add_i32 s37, s37, -1
	s_delay_alu instid0(SALU_CYCLE_1)
	s_cmp_lg_u32 s37, 0
	s_waitcnt lgkmcnt(0)
	v_fma_f32 v5, v16, v17, v5
	s_cbranch_scc1 .LBB1_36
.LBB1_37:                               ;   in Loop: Header=BB1_11 Depth=1
	s_or_b32 exec_lo, exec_lo, s36
	s_and_saveexec_b32 s36, s21
	s_cbranch_execz .LBB1_9
; %bb.38:                               ;   in Loop: Header=BB1_11 Depth=1
	s_and_not1_b32 vcc_lo, exec_lo, s34
	s_cbranch_vccnz .LBB1_42
; %bb.39:                               ;   in Loop: Header=BB1_11 Depth=1
	v_mov_b32_e32 v1, v23
	v_mov_b32_e32 v3, v24
	s_mov_b32 s37, 0
	.p2align	6
.LBB1_40:                               ;   Parent Loop BB1_11 Depth=1
                                        ; =>  This Inner Loop Header: Depth=2
	ds_load_b128 v[16:19], v3
	ds_load_b128 v[25:28], v1
	ds_load_b128 v[29:32], v1 offset:16
	ds_load_b128 v[33:36], v3 offset:16
	s_add_i32 s37, s37, 8
	v_add_nc_u32_e32 v3, 32, v3
	s_cmp_lg_u32 s35, s37
	v_add_nc_u32_e32 v1, 32, v1
	s_waitcnt lgkmcnt(2)
	v_fma_f32 v6, v25, v16, v6
	s_delay_alu instid0(VALU_DEP_1) | instskip(NEXT) | instid1(VALU_DEP_1)
	v_fmac_f32_e32 v6, v26, v17
	v_fmac_f32_e32 v6, v27, v18
	s_delay_alu instid0(VALU_DEP_1) | instskip(SKIP_1) | instid1(VALU_DEP_1)
	v_fmac_f32_e32 v6, v28, v19
	s_waitcnt lgkmcnt(0)
	v_fmac_f32_e32 v6, v29, v33
	s_delay_alu instid0(VALU_DEP_1) | instskip(NEXT) | instid1(VALU_DEP_1)
	v_fmac_f32_e32 v6, v30, v34
	v_fmac_f32_e32 v6, v31, v35
	s_delay_alu instid0(VALU_DEP_1)
	v_fmac_f32_e32 v6, v32, v36
	s_cbranch_scc1 .LBB1_40
; %bb.41:                               ;   in Loop: Header=BB1_11 Depth=1
	s_mov_b32 s37, s35
	s_and_not1_b32 vcc_lo, exec_lo, s31
	s_cbranch_vccz .LBB1_43
	s_branch .LBB1_9
.LBB1_42:                               ;   in Loop: Header=BB1_11 Depth=1
	s_mov_b32 s37, 0
	s_and_not1_b32 vcc_lo, exec_lo, s31
	s_cbranch_vccnz .LBB1_9
.LBB1_43:                               ;   in Loop: Header=BB1_11 Depth=1
	s_lshl_b32 s37, s37, 2
	s_delay_alu instid0(SALU_CYCLE_1)
	v_add_nc_u32_e32 v1, s37, v24
	v_add_nc_u32_e32 v3, s37, v23
	s_mov_b32 s37, s33
.LBB1_44:                               ;   Parent Loop BB1_11 Depth=1
                                        ; =>  This Inner Loop Header: Depth=2
	ds_load_b32 v16, v3
	ds_load_b32 v17, v1
	v_add_nc_u32_e32 v1, 4, v1
	v_add_nc_u32_e32 v3, 4, v3
	s_add_i32 s37, s37, -1
	s_delay_alu instid0(SALU_CYCLE_1)
	s_cmp_lg_u32 s37, 0
	s_waitcnt lgkmcnt(0)
	v_fma_f32 v6, v16, v17, v6
	s_cbranch_scc1 .LBB1_44
	s_branch .LBB1_9
.LBB1_45:
	s_delay_alu instid0(VALU_DEP_1) | instskip(NEXT) | instid1(SALU_CYCLE_1)
	s_and_b32 s4, s7, s4
	s_and_saveexec_b32 s5, s4
	s_cbranch_execz .LBB1_54
; %bb.46:
	v_mad_u64_u32 v[7:8], null, s14, s26, v[4:5]
	s_load_b64 s[0:1], s[0:1], 0x58
	v_cmp_neq_f32_e64 s4, s10, 0
	s_delay_alu instid0(VALU_DEP_2) | instskip(NEXT) | instid1(VALU_DEP_1)
	v_ashrrev_i32_e32 v8, 31, v7
	v_lshlrev_b64 v[3:4], 2, v[7:8]
	s_delay_alu instid0(VALU_DEP_1) | instskip(NEXT) | instid1(VALU_DEP_2)
	v_add_co_u32 v1, vcc_lo, s24, v3
	v_add_co_ci_u32_e32 v3, vcc_lo, s25, v4, vcc_lo
	s_and_saveexec_b32 s5, s3
	s_cbranch_execz .LBB1_50
; %bb.47:
	v_ashrrev_i32_e32 v4, 31, v2
	s_waitcnt lgkmcnt(0)
	v_mul_lo_u32 v7, v2, s1
	s_and_b32 vcc_lo, exec_lo, s4
	s_delay_alu instid0(VALU_DEP_2)
	v_mul_lo_u32 v8, v4, s0
	v_mul_f32_e32 v4, s6, v5
	s_cbranch_vccz .LBB1_55
; %bb.48:
	v_mad_u64_u32 v[9:10], null, v2, s0, 0
	s_delay_alu instid0(VALU_DEP_1) | instskip(NEXT) | instid1(VALU_DEP_1)
	v_add3_u32 v10, v10, v7, v8
	v_lshlrev_b64 v[9:10], 2, v[9:10]
	s_delay_alu instid0(VALU_DEP_1) | instskip(NEXT) | instid1(VALU_DEP_2)
	v_add_co_u32 v9, vcc_lo, v1, v9
	v_add_co_ci_u32_e32 v10, vcc_lo, v3, v10, vcc_lo
	global_load_b32 v5, v[9:10], off
	s_waitcnt vmcnt(0)
	v_fma_f32 v5, s10, v5, v4
	global_store_b32 v[9:10], v5, off
	s_cbranch_execnz .LBB1_50
.LBB1_49:
	v_mad_u64_u32 v[9:10], null, v2, s0, 0
	s_delay_alu instid0(VALU_DEP_1) | instskip(NEXT) | instid1(VALU_DEP_1)
	v_add3_u32 v10, v10, v7, v8
	v_lshlrev_b64 v[7:8], 2, v[9:10]
	s_delay_alu instid0(VALU_DEP_1) | instskip(NEXT) | instid1(VALU_DEP_2)
	v_add_co_u32 v7, vcc_lo, v1, v7
	v_add_co_ci_u32_e32 v8, vcc_lo, v3, v8, vcc_lo
	global_store_b32 v[7:8], v4, off
.LBB1_50:
	s_or_b32 exec_lo, exec_lo, s5
	s_delay_alu instid0(SALU_CYCLE_1)
	s_and_b32 exec_lo, exec_lo, s2
	s_cbranch_execz .LBB1_54
; %bb.51:
	v_ashrrev_i32_e32 v2, 31, v0
	s_waitcnt lgkmcnt(0)
	v_mul_lo_u32 v4, v0, s1
	s_and_not1_b32 vcc_lo, exec_lo, s4
	s_delay_alu instid0(VALU_DEP_2)
	v_mul_lo_u32 v5, v2, s0
	v_mul_f32_e32 v2, s6, v6
	s_cbranch_vccnz .LBB1_56
; %bb.52:
	v_mad_u64_u32 v[6:7], null, v0, s0, 0
	s_delay_alu instid0(VALU_DEP_1) | instskip(NEXT) | instid1(VALU_DEP_1)
	v_add3_u32 v7, v7, v4, v5
	v_lshlrev_b64 v[6:7], 2, v[6:7]
	s_delay_alu instid0(VALU_DEP_1) | instskip(NEXT) | instid1(VALU_DEP_2)
	v_add_co_u32 v6, vcc_lo, v1, v6
	v_add_co_ci_u32_e32 v7, vcc_lo, v3, v7, vcc_lo
	global_load_b32 v8, v[6:7], off
	s_waitcnt vmcnt(0)
	v_fma_f32 v8, s10, v8, v2
	global_store_b32 v[6:7], v8, off
	s_cbranch_execnz .LBB1_54
.LBB1_53:
	v_mad_u64_u32 v[6:7], null, v0, s0, 0
	s_delay_alu instid0(VALU_DEP_1) | instskip(NEXT) | instid1(VALU_DEP_1)
	v_add3_u32 v7, v7, v4, v5
	v_lshlrev_b64 v[4:5], 2, v[6:7]
	s_delay_alu instid0(VALU_DEP_1) | instskip(NEXT) | instid1(VALU_DEP_2)
	v_add_co_u32 v0, vcc_lo, v1, v4
	v_add_co_ci_u32_e32 v1, vcc_lo, v3, v5, vcc_lo
	global_store_b32 v[0:1], v2, off
.LBB1_54:
	s_nop 0
	s_sendmsg sendmsg(MSG_DEALLOC_VGPRS)
	s_endpgm
.LBB1_55:
	s_branch .LBB1_49
.LBB1_56:
	s_branch .LBB1_53
	.section	.rodata,"a",@progbits
	.p2align	6, 0x0
	.amdhsa_kernel _ZN9rocsparseL33gebsrmm_large_blockdim_kernel_extILi16ELi16ELi2EfEEv20rocsparse_direction_20rocsparse_operation_iiNS_24const_host_device_scalarIT2_EEPKiS7_PKS4_iiS9_lS5_PS4_l21rocsparse_index_base_b
		.amdhsa_group_segment_fixed_size 3072
		.amdhsa_private_segment_fixed_size 0
		.amdhsa_kernarg_size 104
		.amdhsa_user_sgpr_count 14
		.amdhsa_user_sgpr_dispatch_ptr 0
		.amdhsa_user_sgpr_queue_ptr 0
		.amdhsa_user_sgpr_kernarg_segment_ptr 1
		.amdhsa_user_sgpr_dispatch_id 0
		.amdhsa_user_sgpr_private_segment_size 0
		.amdhsa_wavefront_size32 1
		.amdhsa_uses_dynamic_stack 0
		.amdhsa_enable_private_segment 0
		.amdhsa_system_sgpr_workgroup_id_x 1
		.amdhsa_system_sgpr_workgroup_id_y 1
		.amdhsa_system_sgpr_workgroup_id_z 0
		.amdhsa_system_sgpr_workgroup_info 0
		.amdhsa_system_vgpr_workitem_id 1
		.amdhsa_next_free_vgpr 37
		.amdhsa_next_free_sgpr 40
		.amdhsa_reserve_vcc 1
		.amdhsa_float_round_mode_32 0
		.amdhsa_float_round_mode_16_64 0
		.amdhsa_float_denorm_mode_32 3
		.amdhsa_float_denorm_mode_16_64 3
		.amdhsa_dx10_clamp 1
		.amdhsa_ieee_mode 1
		.amdhsa_fp16_overflow 0
		.amdhsa_workgroup_processor_mode 1
		.amdhsa_memory_ordered 1
		.amdhsa_forward_progress 0
		.amdhsa_shared_vgpr_count 0
		.amdhsa_exception_fp_ieee_invalid_op 0
		.amdhsa_exception_fp_denorm_src 0
		.amdhsa_exception_fp_ieee_div_zero 0
		.amdhsa_exception_fp_ieee_overflow 0
		.amdhsa_exception_fp_ieee_underflow 0
		.amdhsa_exception_fp_ieee_inexact 0
		.amdhsa_exception_int_div_zero 0
	.end_amdhsa_kernel
	.section	.text._ZN9rocsparseL33gebsrmm_large_blockdim_kernel_extILi16ELi16ELi2EfEEv20rocsparse_direction_20rocsparse_operation_iiNS_24const_host_device_scalarIT2_EEPKiS7_PKS4_iiS9_lS5_PS4_l21rocsparse_index_base_b,"axG",@progbits,_ZN9rocsparseL33gebsrmm_large_blockdim_kernel_extILi16ELi16ELi2EfEEv20rocsparse_direction_20rocsparse_operation_iiNS_24const_host_device_scalarIT2_EEPKiS7_PKS4_iiS9_lS5_PS4_l21rocsparse_index_base_b,comdat
.Lfunc_end1:
	.size	_ZN9rocsparseL33gebsrmm_large_blockdim_kernel_extILi16ELi16ELi2EfEEv20rocsparse_direction_20rocsparse_operation_iiNS_24const_host_device_scalarIT2_EEPKiS7_PKS4_iiS9_lS5_PS4_l21rocsparse_index_base_b, .Lfunc_end1-_ZN9rocsparseL33gebsrmm_large_blockdim_kernel_extILi16ELi16ELi2EfEEv20rocsparse_direction_20rocsparse_operation_iiNS_24const_host_device_scalarIT2_EEPKiS7_PKS4_iiS9_lS5_PS4_l21rocsparse_index_base_b
                                        ; -- End function
	.section	.AMDGPU.csdata,"",@progbits
; Kernel info:
; codeLenInByte = 2068
; NumSgprs: 42
; NumVgprs: 37
; ScratchSize: 0
; MemoryBound: 0
; FloatMode: 240
; IeeeMode: 1
; LDSByteSize: 3072 bytes/workgroup (compile time only)
; SGPRBlocks: 5
; VGPRBlocks: 4
; NumSGPRsForWavesPerEU: 42
; NumVGPRsForWavesPerEU: 37
; Occupancy: 16
; WaveLimiterHint : 1
; COMPUTE_PGM_RSRC2:SCRATCH_EN: 0
; COMPUTE_PGM_RSRC2:USER_SGPR: 14
; COMPUTE_PGM_RSRC2:TRAP_HANDLER: 0
; COMPUTE_PGM_RSRC2:TGID_X_EN: 1
; COMPUTE_PGM_RSRC2:TGID_Y_EN: 1
; COMPUTE_PGM_RSRC2:TGID_Z_EN: 0
; COMPUTE_PGM_RSRC2:TIDIG_COMP_CNT: 1
	.section	.text._ZN9rocsparseL33gebsrmm_large_blockdim_kernel_extILi32ELi32ELi2EfEEv20rocsparse_direction_20rocsparse_operation_iiNS_24const_host_device_scalarIT2_EEPKiS7_PKS4_iiS9_lS5_PS4_l21rocsparse_index_base_b,"axG",@progbits,_ZN9rocsparseL33gebsrmm_large_blockdim_kernel_extILi32ELi32ELi2EfEEv20rocsparse_direction_20rocsparse_operation_iiNS_24const_host_device_scalarIT2_EEPKiS7_PKS4_iiS9_lS5_PS4_l21rocsparse_index_base_b,comdat
	.globl	_ZN9rocsparseL33gebsrmm_large_blockdim_kernel_extILi32ELi32ELi2EfEEv20rocsparse_direction_20rocsparse_operation_iiNS_24const_host_device_scalarIT2_EEPKiS7_PKS4_iiS9_lS5_PS4_l21rocsparse_index_base_b ; -- Begin function _ZN9rocsparseL33gebsrmm_large_blockdim_kernel_extILi32ELi32ELi2EfEEv20rocsparse_direction_20rocsparse_operation_iiNS_24const_host_device_scalarIT2_EEPKiS7_PKS4_iiS9_lS5_PS4_l21rocsparse_index_base_b
	.p2align	8
	.type	_ZN9rocsparseL33gebsrmm_large_blockdim_kernel_extILi32ELi32ELi2EfEEv20rocsparse_direction_20rocsparse_operation_iiNS_24const_host_device_scalarIT2_EEPKiS7_PKS4_iiS9_lS5_PS4_l21rocsparse_index_base_b,@function
_ZN9rocsparseL33gebsrmm_large_blockdim_kernel_extILi32ELi32ELi2EfEEv20rocsparse_direction_20rocsparse_operation_iiNS_24const_host_device_scalarIT2_EEPKiS7_PKS4_iiS9_lS5_PS4_l21rocsparse_index_base_b: ; @_ZN9rocsparseL33gebsrmm_large_blockdim_kernel_extILi32ELi32ELi2EfEEv20rocsparse_direction_20rocsparse_operation_iiNS_24const_host_device_scalarIT2_EEPKiS7_PKS4_iiS9_lS5_PS4_l21rocsparse_index_base_b
; %bb.0:
	s_clause 0x2
	s_load_b64 s[12:13], s[0:1], 0x60
	s_load_b64 s[6:7], s[0:1], 0x10
	s_load_b128 s[8:11], s[0:1], 0x40
	s_waitcnt lgkmcnt(0)
	s_bitcmp1_b32 s13, 0
	s_cselect_b32 s2, -1, 0
	s_delay_alu instid0(SALU_CYCLE_1)
	s_and_b32 vcc_lo, exec_lo, s2
	s_xor_b32 s2, s2, -1
	s_cbranch_vccnz .LBB2_2
; %bb.1:
	s_load_b32 s6, s[6:7], 0x0
.LBB2_2:
	s_and_not1_b32 vcc_lo, exec_lo, s2
	s_cbranch_vccnz .LBB2_4
; %bb.3:
	s_load_b32 s10, s[10:11], 0x0
.LBB2_4:
	s_waitcnt lgkmcnt(0)
	v_cmp_eq_f32_e64 s2, s6, 0
	v_cmp_eq_f32_e64 s3, s10, 1.0
	s_mov_b32 s11, 0
	s_delay_alu instid0(VALU_DEP_1) | instskip(NEXT) | instid1(SALU_CYCLE_1)
	s_and_b32 s2, s2, s3
	s_and_b32 vcc_lo, exec_lo, s2
	s_cbranch_vccnz .LBB2_54
; %bb.5:
	s_load_b128 s[20:23], s[0:1], 0x0
	s_waitcnt lgkmcnt(0)
	s_cmp_lt_i32 s14, s22
	s_cselect_b32 s7, -1, 0
	s_cmp_ge_i32 s14, s22
	s_mov_b32 s22, 0
	s_cbranch_scc1 .LBB2_7
; %bb.6:
	s_load_b64 s[4:5], s[0:1], 0x18
	s_mov_b32 s2, s15
	s_ashr_i32 s15, s14, 31
	s_delay_alu instid0(SALU_CYCLE_1)
	s_lshl_b64 s[16:17], s[14:15], 2
	s_mov_b32 s15, s2
	s_waitcnt lgkmcnt(0)
	s_add_u32 s2, s4, s16
	s_addc_u32 s3, s5, s17
	s_load_b64 s[2:3], s[2:3], 0x0
	s_waitcnt lgkmcnt(0)
	s_sub_i32 s22, s2, s12
	s_sub_i32 s11, s3, s12
.LBB2_7:
	s_clause 0x1
	s_load_b64 s[26:27], s[0:1], 0x30
	s_load_b64 s[24:25], s[0:1], 0x50
	v_bfe_u32 v7, v0, 10, 10
	s_mov_b32 s30, 0
	s_cmp_ge_i32 s22, s11
	s_mov_b32 s31, s30
	v_dual_mov_b32 v5, s30 :: v_dual_and_b32 v4, 0x3ff, v0
	v_lshl_add_u32 v2, s15, 6, v7
	v_mov_b32_e32 v6, s31
	s_delay_alu instid0(VALU_DEP_2) | instskip(SKIP_1) | instid1(VALU_DEP_2)
	v_add_nc_u32_e32 v0, 32, v2
	v_cmp_gt_i32_e64 s3, s23, v2
	v_cmp_gt_i32_e64 s2, s23, v0
	s_waitcnt lgkmcnt(0)
	v_cmp_gt_i32_e64 s4, s26, v4
	s_cbranch_scc1 .LBB2_45
; %bb.8:
	v_ashrrev_i32_e32 v3, 31, v2
	v_ashrrev_i32_e32 v1, 31, v0
	v_cmp_gt_i32_e32 vcc_lo, s27, v7
	s_clause 0x1
	s_load_b128 s[16:19], s[0:1], 0x20
	s_load_b64 s[28:29], s[0:1], 0x38
	v_mul_lo_u32 v11, v2, s9
	v_mul_lo_u32 v16, v3, s8
	v_mad_u64_u32 v[12:13], null, v2, s8, 0
	v_mul_lo_u32 v17, v0, s9
	v_mul_lo_u32 v18, v1, s8
	v_mad_u64_u32 v[14:15], null, v0, s8, 0
	s_and_b32 s13, s4, vcc_lo
	s_cmpk_lg_i32 s21, 0x6f
	v_mad_u64_u32 v[5:6], null, v7, s26, v[4:5]
	s_cselect_b32 s15, -1, 0
	s_cmp_eq_u32 s20, 0
	v_mad_u64_u32 v[8:9], null, v4, s27, v[7:8]
	s_cselect_b32 vcc_lo, -1, 0
	s_cmp_gt_i32 s27, 0
	v_lshlrev_b32_e32 v10, 5, v7
	v_lshl_add_u32 v6, v4, 5, v7
	v_add3_u32 v13, v13, v11, v16
	v_add3_u32 v15, v15, v17, v18
	s_cselect_b32 s21, -1, 0
	v_lshlrev_b32_e32 v22, 7, v7
	s_and_b32 s20, s3, s21
	s_and_b32 s21, s2, s21
	;; [unrolled: 1-line block ×3, first 2 shown]
	s_cmp_gt_u32 s27, 7
	v_lshl_add_u32 v20, v6, 2, 0x2000
	v_cndmask_b32_e32 v7, v5, v8, vcc_lo
	v_mov_b32_e32 v5, s30
	v_add_lshl_u32 v21, v10, v4, 2
	v_lshlrev_b64 v[8:9], 2, v[2:3]
	v_lshlrev_b64 v[10:11], 2, v[0:1]
	;; [unrolled: 1-line block ×4, first 2 shown]
	v_cmp_gt_i32_e64 s5, s27, v4
	s_cselect_b32 s34, -1, 0
	s_and_b32 s35, s27, 0x7ffffff8
	v_lshl_add_u32 v23, v4, 7, 0x2000
	v_add_nc_u32_e32 v24, 0x1000, v22
	v_mov_b32_e32 v6, s31
	s_cmp_lg_u32 s33, 0
	s_mul_i32 s30, s27, s26
	s_cselect_b32 s31, -1, 0
	s_branch .LBB2_11
.LBB2_9:                                ;   in Loop: Header=BB2_11 Depth=1
	s_or_b32 exec_lo, exec_lo, s36
.LBB2_10:                               ;   in Loop: Header=BB2_11 Depth=1
	s_delay_alu instid0(SALU_CYCLE_1) | instskip(SKIP_1) | instid1(SALU_CYCLE_1)
	s_or_b32 exec_lo, exec_lo, s23
	s_add_i32 s22, s22, 1
	s_cmp_ge_i32 s22, s11
	s_barrier
	buffer_gl0_inv
	s_cbranch_scc1 .LBB2_45
.LBB2_11:                               ; =>This Loop Header: Depth=1
                                        ;     Child Loop BB2_32 Depth 2
                                        ;     Child Loop BB2_36 Depth 2
	;; [unrolled: 1-line block ×4, first 2 shown]
	s_and_saveexec_b32 s36, s5
	s_cbranch_execz .LBB2_26
; %bb.12:                               ;   in Loop: Header=BB2_11 Depth=1
	s_ashr_i32 s23, s22, 31
	s_delay_alu instid0(SALU_CYCLE_1)
	s_lshl_b64 s[38:39], s[22:23], 2
	s_waitcnt lgkmcnt(0)
	s_add_u32 s38, s16, s38
	s_addc_u32 s39, s17, s39
	s_and_not1_b32 vcc_lo, exec_lo, s15
	s_load_b32 s23, s[38:39], 0x0
	s_waitcnt lgkmcnt(0)
	s_sub_i32 s23, s23, s12
	s_delay_alu instid0(SALU_CYCLE_1) | instskip(NEXT) | instid1(VALU_DEP_1)
	v_mad_u64_u32 v[16:17], null, s23, s27, v[4:5]
	v_ashrrev_i32_e32 v17, 31, v16
	s_cbranch_vccnz .LBB2_18
; %bb.13:                               ;   in Loop: Header=BB2_11 Depth=1
	s_delay_alu instid0(VALU_DEP_1) | instskip(SKIP_2) | instid1(VALU_DEP_1)
	v_mul_lo_u32 v1, v17, s8
	v_mul_lo_u32 v3, v16, s9
	v_mad_u64_u32 v[18:19], null, v16, s8, 0
	v_add3_u32 v19, v19, v3, v1
	s_delay_alu instid0(VALU_DEP_1) | instskip(NEXT) | instid1(VALU_DEP_1)
	v_lshlrev_b64 v[18:19], 2, v[18:19]
	v_add_co_u32 v1, vcc_lo, s28, v18
	s_delay_alu instid0(VALU_DEP_2)
	v_add_co_ci_u32_e32 v3, vcc_lo, s29, v19, vcc_lo
	s_and_saveexec_b32 s23, s3
	s_cbranch_execz .LBB2_15
; %bb.14:                               ;   in Loop: Header=BB2_11 Depth=1
	s_delay_alu instid0(VALU_DEP_2) | instskip(NEXT) | instid1(VALU_DEP_2)
	v_add_co_u32 v18, vcc_lo, v1, v8
	v_add_co_ci_u32_e32 v19, vcc_lo, v3, v9, vcc_lo
	global_load_b32 v18, v[18:19], off
	s_waitcnt vmcnt(0)
	ds_store_b32 v21, v18
.LBB2_15:                               ;   in Loop: Header=BB2_11 Depth=1
	s_or_b32 exec_lo, exec_lo, s23
	s_mov_b32 s37, 0
	s_mov_b32 s23, 0
                                        ; implicit-def: $vgpr18_vgpr19
	s_and_saveexec_b32 s38, s2
	s_delay_alu instid0(SALU_CYCLE_1)
	s_xor_b32 s38, exec_lo, s38
; %bb.16:                               ;   in Loop: Header=BB2_11 Depth=1
	v_add_co_u32 v18, vcc_lo, v1, v10
	v_add_co_ci_u32_e32 v19, vcc_lo, v3, v11, vcc_lo
	s_mov_b32 s23, exec_lo
; %bb.17:                               ;   in Loop: Header=BB2_11 Depth=1
	s_or_b32 exec_lo, exec_lo, s38
	s_delay_alu instid0(SALU_CYCLE_1)
	s_and_b32 vcc_lo, exec_lo, s37
	s_cbranch_vccnz .LBB2_19
	s_branch .LBB2_24
.LBB2_18:                               ;   in Loop: Header=BB2_11 Depth=1
	s_mov_b32 s23, 0
                                        ; implicit-def: $vgpr18_vgpr19
	s_cbranch_execz .LBB2_24
.LBB2_19:                               ;   in Loop: Header=BB2_11 Depth=1
	s_delay_alu instid0(VALU_DEP_1) | instskip(NEXT) | instid1(VALU_DEP_1)
	v_lshlrev_b64 v[16:17], 2, v[16:17]
	v_add_co_u32 v1, vcc_lo, s28, v16
	s_delay_alu instid0(VALU_DEP_2)
	v_add_co_ci_u32_e32 v3, vcc_lo, s29, v17, vcc_lo
	s_and_saveexec_b32 s37, s3
	s_cbranch_execz .LBB2_21
; %bb.20:                               ;   in Loop: Header=BB2_11 Depth=1
	s_delay_alu instid0(VALU_DEP_2) | instskip(NEXT) | instid1(VALU_DEP_2)
	v_add_co_u32 v16, vcc_lo, v1, v12
	v_add_co_ci_u32_e32 v17, vcc_lo, v3, v13, vcc_lo
	global_load_b32 v16, v[16:17], off
	s_waitcnt vmcnt(0)
	ds_store_b32 v21, v16
.LBB2_21:                               ;   in Loop: Header=BB2_11 Depth=1
	s_or_b32 exec_lo, exec_lo, s37
                                        ; implicit-def: $vgpr18_vgpr19
	s_and_saveexec_b32 s37, s2
; %bb.22:                               ;   in Loop: Header=BB2_11 Depth=1
	v_add_co_u32 v18, vcc_lo, v1, v14
	v_add_co_ci_u32_e32 v19, vcc_lo, v3, v15, vcc_lo
	s_or_b32 s23, s23, exec_lo
; %bb.23:                               ;   in Loop: Header=BB2_11 Depth=1
	s_or_b32 exec_lo, exec_lo, s37
.LBB2_24:                               ;   in Loop: Header=BB2_11 Depth=1
	s_delay_alu instid0(SALU_CYCLE_1)
	s_and_b32 exec_lo, exec_lo, s23
	s_cbranch_execz .LBB2_26
; %bb.25:                               ;   in Loop: Header=BB2_11 Depth=1
	global_load_b32 v1, v[18:19], off
	s_waitcnt vmcnt(0)
	ds_store_b32 v21, v1 offset:4096
.LBB2_26:                               ;   in Loop: Header=BB2_11 Depth=1
	s_or_b32 exec_lo, exec_lo, s36
	s_and_saveexec_b32 s23, s13
	s_cbranch_execz .LBB2_28
; %bb.27:                               ;   in Loop: Header=BB2_11 Depth=1
	v_mad_u64_u32 v[16:17], null, s30, s22, v[7:8]
	s_delay_alu instid0(VALU_DEP_1) | instskip(NEXT) | instid1(VALU_DEP_1)
	v_ashrrev_i32_e32 v17, 31, v16
	v_lshlrev_b64 v[16:17], 2, v[16:17]
	s_waitcnt lgkmcnt(0)
	s_delay_alu instid0(VALU_DEP_1) | instskip(NEXT) | instid1(VALU_DEP_2)
	v_add_co_u32 v16, vcc_lo, s18, v16
	v_add_co_ci_u32_e32 v17, vcc_lo, s19, v17, vcc_lo
	global_load_b32 v1, v[16:17], off
	s_waitcnt vmcnt(0)
	ds_store_b32 v20, v1
.LBB2_28:                               ;   in Loop: Header=BB2_11 Depth=1
	s_or_b32 exec_lo, exec_lo, s23
	s_waitcnt lgkmcnt(0)
	s_barrier
	buffer_gl0_inv
	s_and_saveexec_b32 s23, s4
	s_cbranch_execz .LBB2_10
; %bb.29:                               ;   in Loop: Header=BB2_11 Depth=1
	s_and_saveexec_b32 s36, s20
	s_cbranch_execz .LBB2_37
; %bb.30:                               ;   in Loop: Header=BB2_11 Depth=1
	s_and_not1_b32 vcc_lo, exec_lo, s34
	s_cbranch_vccnz .LBB2_34
; %bb.31:                               ;   in Loop: Header=BB2_11 Depth=1
	v_mov_b32_e32 v1, v23
	v_mov_b32_e32 v3, v22
	s_mov_b32 s37, 0
	.p2align	6
.LBB2_32:                               ;   Parent Loop BB2_11 Depth=1
                                        ; =>  This Inner Loop Header: Depth=2
	ds_load_b128 v[16:19], v3
	ds_load_b128 v[25:28], v1
	ds_load_b128 v[29:32], v1 offset:16
	ds_load_b128 v[33:36], v3 offset:16
	v_add_nc_u32_e32 v3, 32, v3
	v_add_nc_u32_e32 v1, 32, v1
	s_add_i32 s37, s37, 8
	s_delay_alu instid0(SALU_CYCLE_1) | instskip(SKIP_2) | instid1(VALU_DEP_1)
	s_cmp_lg_u32 s35, s37
	s_waitcnt lgkmcnt(2)
	v_fma_f32 v5, v25, v16, v5
	v_fmac_f32_e32 v5, v26, v17
	s_delay_alu instid0(VALU_DEP_1) | instskip(NEXT) | instid1(VALU_DEP_1)
	v_fmac_f32_e32 v5, v27, v18
	v_fmac_f32_e32 v5, v28, v19
	s_waitcnt lgkmcnt(0)
	s_delay_alu instid0(VALU_DEP_1) | instskip(NEXT) | instid1(VALU_DEP_1)
	v_fmac_f32_e32 v5, v29, v33
	v_fmac_f32_e32 v5, v30, v34
	s_delay_alu instid0(VALU_DEP_1) | instskip(NEXT) | instid1(VALU_DEP_1)
	v_fmac_f32_e32 v5, v31, v35
	v_fmac_f32_e32 v5, v32, v36
	s_cbranch_scc1 .LBB2_32
; %bb.33:                               ;   in Loop: Header=BB2_11 Depth=1
	s_mov_b32 s37, s35
	s_and_not1_b32 vcc_lo, exec_lo, s31
	s_cbranch_vccz .LBB2_35
	s_branch .LBB2_37
.LBB2_34:                               ;   in Loop: Header=BB2_11 Depth=1
	s_mov_b32 s37, 0
	s_and_not1_b32 vcc_lo, exec_lo, s31
	s_cbranch_vccnz .LBB2_37
.LBB2_35:                               ;   in Loop: Header=BB2_11 Depth=1
	s_lshl_b32 s37, s37, 2
	s_delay_alu instid0(SALU_CYCLE_1)
	v_add_nc_u32_e32 v1, s37, v22
	v_add_nc_u32_e32 v3, s37, v23
	s_mov_b32 s37, s33
.LBB2_36:                               ;   Parent Loop BB2_11 Depth=1
                                        ; =>  This Inner Loop Header: Depth=2
	ds_load_b32 v16, v3
	ds_load_b32 v17, v1
	v_add_nc_u32_e32 v1, 4, v1
	v_add_nc_u32_e32 v3, 4, v3
	s_add_i32 s37, s37, -1
	s_delay_alu instid0(SALU_CYCLE_1)
	s_cmp_lg_u32 s37, 0
	s_waitcnt lgkmcnt(0)
	v_fma_f32 v5, v16, v17, v5
	s_cbranch_scc1 .LBB2_36
.LBB2_37:                               ;   in Loop: Header=BB2_11 Depth=1
	s_or_b32 exec_lo, exec_lo, s36
	s_and_saveexec_b32 s36, s21
	s_cbranch_execz .LBB2_9
; %bb.38:                               ;   in Loop: Header=BB2_11 Depth=1
	s_and_not1_b32 vcc_lo, exec_lo, s34
	s_cbranch_vccnz .LBB2_42
; %bb.39:                               ;   in Loop: Header=BB2_11 Depth=1
	v_mov_b32_e32 v1, v23
	v_mov_b32_e32 v3, v24
	s_mov_b32 s37, 0
	.p2align	6
.LBB2_40:                               ;   Parent Loop BB2_11 Depth=1
                                        ; =>  This Inner Loop Header: Depth=2
	ds_load_b128 v[16:19], v3
	ds_load_b128 v[25:28], v1
	ds_load_b128 v[29:32], v1 offset:16
	ds_load_b128 v[33:36], v3 offset:16
	s_add_i32 s37, s37, 8
	v_add_nc_u32_e32 v3, 32, v3
	s_cmp_lg_u32 s35, s37
	v_add_nc_u32_e32 v1, 32, v1
	s_waitcnt lgkmcnt(2)
	v_fma_f32 v6, v25, v16, v6
	s_delay_alu instid0(VALU_DEP_1) | instskip(NEXT) | instid1(VALU_DEP_1)
	v_fmac_f32_e32 v6, v26, v17
	v_fmac_f32_e32 v6, v27, v18
	s_delay_alu instid0(VALU_DEP_1) | instskip(SKIP_1) | instid1(VALU_DEP_1)
	v_fmac_f32_e32 v6, v28, v19
	s_waitcnt lgkmcnt(0)
	v_fmac_f32_e32 v6, v29, v33
	s_delay_alu instid0(VALU_DEP_1) | instskip(NEXT) | instid1(VALU_DEP_1)
	v_fmac_f32_e32 v6, v30, v34
	v_fmac_f32_e32 v6, v31, v35
	s_delay_alu instid0(VALU_DEP_1)
	v_fmac_f32_e32 v6, v32, v36
	s_cbranch_scc1 .LBB2_40
; %bb.41:                               ;   in Loop: Header=BB2_11 Depth=1
	s_mov_b32 s37, s35
	s_and_not1_b32 vcc_lo, exec_lo, s31
	s_cbranch_vccz .LBB2_43
	s_branch .LBB2_9
.LBB2_42:                               ;   in Loop: Header=BB2_11 Depth=1
	s_mov_b32 s37, 0
	s_and_not1_b32 vcc_lo, exec_lo, s31
	s_cbranch_vccnz .LBB2_9
.LBB2_43:                               ;   in Loop: Header=BB2_11 Depth=1
	s_lshl_b32 s37, s37, 2
	s_delay_alu instid0(SALU_CYCLE_1)
	v_add_nc_u32_e32 v1, s37, v24
	v_add_nc_u32_e32 v3, s37, v23
	s_mov_b32 s37, s33
.LBB2_44:                               ;   Parent Loop BB2_11 Depth=1
                                        ; =>  This Inner Loop Header: Depth=2
	ds_load_b32 v16, v3
	ds_load_b32 v17, v1
	v_add_nc_u32_e32 v1, 4, v1
	v_add_nc_u32_e32 v3, 4, v3
	s_add_i32 s37, s37, -1
	s_delay_alu instid0(SALU_CYCLE_1)
	s_cmp_lg_u32 s37, 0
	s_waitcnt lgkmcnt(0)
	v_fma_f32 v6, v16, v17, v6
	s_cbranch_scc1 .LBB2_44
	s_branch .LBB2_9
.LBB2_45:
	s_delay_alu instid0(VALU_DEP_1) | instskip(NEXT) | instid1(SALU_CYCLE_1)
	s_and_b32 s4, s7, s4
	s_and_saveexec_b32 s5, s4
	s_cbranch_execz .LBB2_54
; %bb.46:
	v_mad_u64_u32 v[7:8], null, s14, s26, v[4:5]
	s_load_b64 s[0:1], s[0:1], 0x58
	v_cmp_neq_f32_e64 s4, s10, 0
	s_delay_alu instid0(VALU_DEP_2) | instskip(NEXT) | instid1(VALU_DEP_1)
	v_ashrrev_i32_e32 v8, 31, v7
	v_lshlrev_b64 v[3:4], 2, v[7:8]
	s_delay_alu instid0(VALU_DEP_1) | instskip(NEXT) | instid1(VALU_DEP_2)
	v_add_co_u32 v1, vcc_lo, s24, v3
	v_add_co_ci_u32_e32 v3, vcc_lo, s25, v4, vcc_lo
	s_and_saveexec_b32 s5, s3
	s_cbranch_execz .LBB2_50
; %bb.47:
	v_ashrrev_i32_e32 v4, 31, v2
	s_waitcnt lgkmcnt(0)
	v_mul_lo_u32 v7, v2, s1
	s_and_b32 vcc_lo, exec_lo, s4
	s_delay_alu instid0(VALU_DEP_2)
	v_mul_lo_u32 v8, v4, s0
	v_mul_f32_e32 v4, s6, v5
	s_cbranch_vccz .LBB2_55
; %bb.48:
	v_mad_u64_u32 v[9:10], null, v2, s0, 0
	s_delay_alu instid0(VALU_DEP_1) | instskip(NEXT) | instid1(VALU_DEP_1)
	v_add3_u32 v10, v10, v7, v8
	v_lshlrev_b64 v[9:10], 2, v[9:10]
	s_delay_alu instid0(VALU_DEP_1) | instskip(NEXT) | instid1(VALU_DEP_2)
	v_add_co_u32 v9, vcc_lo, v1, v9
	v_add_co_ci_u32_e32 v10, vcc_lo, v3, v10, vcc_lo
	global_load_b32 v5, v[9:10], off
	s_waitcnt vmcnt(0)
	v_fma_f32 v5, s10, v5, v4
	global_store_b32 v[9:10], v5, off
	s_cbranch_execnz .LBB2_50
.LBB2_49:
	v_mad_u64_u32 v[9:10], null, v2, s0, 0
	s_delay_alu instid0(VALU_DEP_1) | instskip(NEXT) | instid1(VALU_DEP_1)
	v_add3_u32 v10, v10, v7, v8
	v_lshlrev_b64 v[7:8], 2, v[9:10]
	s_delay_alu instid0(VALU_DEP_1) | instskip(NEXT) | instid1(VALU_DEP_2)
	v_add_co_u32 v7, vcc_lo, v1, v7
	v_add_co_ci_u32_e32 v8, vcc_lo, v3, v8, vcc_lo
	global_store_b32 v[7:8], v4, off
.LBB2_50:
	s_or_b32 exec_lo, exec_lo, s5
	s_delay_alu instid0(SALU_CYCLE_1)
	s_and_b32 exec_lo, exec_lo, s2
	s_cbranch_execz .LBB2_54
; %bb.51:
	v_ashrrev_i32_e32 v2, 31, v0
	s_waitcnt lgkmcnt(0)
	v_mul_lo_u32 v4, v0, s1
	s_and_not1_b32 vcc_lo, exec_lo, s4
	s_delay_alu instid0(VALU_DEP_2)
	v_mul_lo_u32 v5, v2, s0
	v_mul_f32_e32 v2, s6, v6
	s_cbranch_vccnz .LBB2_56
; %bb.52:
	v_mad_u64_u32 v[6:7], null, v0, s0, 0
	s_delay_alu instid0(VALU_DEP_1) | instskip(NEXT) | instid1(VALU_DEP_1)
	v_add3_u32 v7, v7, v4, v5
	v_lshlrev_b64 v[6:7], 2, v[6:7]
	s_delay_alu instid0(VALU_DEP_1) | instskip(NEXT) | instid1(VALU_DEP_2)
	v_add_co_u32 v6, vcc_lo, v1, v6
	v_add_co_ci_u32_e32 v7, vcc_lo, v3, v7, vcc_lo
	global_load_b32 v8, v[6:7], off
	s_waitcnt vmcnt(0)
	v_fma_f32 v8, s10, v8, v2
	global_store_b32 v[6:7], v8, off
	s_cbranch_execnz .LBB2_54
.LBB2_53:
	v_mad_u64_u32 v[6:7], null, v0, s0, 0
	s_delay_alu instid0(VALU_DEP_1) | instskip(NEXT) | instid1(VALU_DEP_1)
	v_add3_u32 v7, v7, v4, v5
	v_lshlrev_b64 v[4:5], 2, v[6:7]
	s_delay_alu instid0(VALU_DEP_1) | instskip(NEXT) | instid1(VALU_DEP_2)
	v_add_co_u32 v0, vcc_lo, v1, v4
	v_add_co_ci_u32_e32 v1, vcc_lo, v3, v5, vcc_lo
	global_store_b32 v[0:1], v2, off
.LBB2_54:
	s_nop 0
	s_sendmsg sendmsg(MSG_DEALLOC_VGPRS)
	s_endpgm
.LBB2_55:
	s_branch .LBB2_49
.LBB2_56:
	s_branch .LBB2_53
	.section	.rodata,"a",@progbits
	.p2align	6, 0x0
	.amdhsa_kernel _ZN9rocsparseL33gebsrmm_large_blockdim_kernel_extILi32ELi32ELi2EfEEv20rocsparse_direction_20rocsparse_operation_iiNS_24const_host_device_scalarIT2_EEPKiS7_PKS4_iiS9_lS5_PS4_l21rocsparse_index_base_b
		.amdhsa_group_segment_fixed_size 12288
		.amdhsa_private_segment_fixed_size 0
		.amdhsa_kernarg_size 104
		.amdhsa_user_sgpr_count 14
		.amdhsa_user_sgpr_dispatch_ptr 0
		.amdhsa_user_sgpr_queue_ptr 0
		.amdhsa_user_sgpr_kernarg_segment_ptr 1
		.amdhsa_user_sgpr_dispatch_id 0
		.amdhsa_user_sgpr_private_segment_size 0
		.amdhsa_wavefront_size32 1
		.amdhsa_uses_dynamic_stack 0
		.amdhsa_enable_private_segment 0
		.amdhsa_system_sgpr_workgroup_id_x 1
		.amdhsa_system_sgpr_workgroup_id_y 1
		.amdhsa_system_sgpr_workgroup_id_z 0
		.amdhsa_system_sgpr_workgroup_info 0
		.amdhsa_system_vgpr_workitem_id 1
		.amdhsa_next_free_vgpr 37
		.amdhsa_next_free_sgpr 40
		.amdhsa_reserve_vcc 1
		.amdhsa_float_round_mode_32 0
		.amdhsa_float_round_mode_16_64 0
		.amdhsa_float_denorm_mode_32 3
		.amdhsa_float_denorm_mode_16_64 3
		.amdhsa_dx10_clamp 1
		.amdhsa_ieee_mode 1
		.amdhsa_fp16_overflow 0
		.amdhsa_workgroup_processor_mode 1
		.amdhsa_memory_ordered 1
		.amdhsa_forward_progress 0
		.amdhsa_shared_vgpr_count 0
		.amdhsa_exception_fp_ieee_invalid_op 0
		.amdhsa_exception_fp_denorm_src 0
		.amdhsa_exception_fp_ieee_div_zero 0
		.amdhsa_exception_fp_ieee_overflow 0
		.amdhsa_exception_fp_ieee_underflow 0
		.amdhsa_exception_fp_ieee_inexact 0
		.amdhsa_exception_int_div_zero 0
	.end_amdhsa_kernel
	.section	.text._ZN9rocsparseL33gebsrmm_large_blockdim_kernel_extILi32ELi32ELi2EfEEv20rocsparse_direction_20rocsparse_operation_iiNS_24const_host_device_scalarIT2_EEPKiS7_PKS4_iiS9_lS5_PS4_l21rocsparse_index_base_b,"axG",@progbits,_ZN9rocsparseL33gebsrmm_large_blockdim_kernel_extILi32ELi32ELi2EfEEv20rocsparse_direction_20rocsparse_operation_iiNS_24const_host_device_scalarIT2_EEPKiS7_PKS4_iiS9_lS5_PS4_l21rocsparse_index_base_b,comdat
.Lfunc_end2:
	.size	_ZN9rocsparseL33gebsrmm_large_blockdim_kernel_extILi32ELi32ELi2EfEEv20rocsparse_direction_20rocsparse_operation_iiNS_24const_host_device_scalarIT2_EEPKiS7_PKS4_iiS9_lS5_PS4_l21rocsparse_index_base_b, .Lfunc_end2-_ZN9rocsparseL33gebsrmm_large_blockdim_kernel_extILi32ELi32ELi2EfEEv20rocsparse_direction_20rocsparse_operation_iiNS_24const_host_device_scalarIT2_EEPKiS7_PKS4_iiS9_lS5_PS4_l21rocsparse_index_base_b
                                        ; -- End function
	.section	.AMDGPU.csdata,"",@progbits
; Kernel info:
; codeLenInByte = 2068
; NumSgprs: 42
; NumVgprs: 37
; ScratchSize: 0
; MemoryBound: 0
; FloatMode: 240
; IeeeMode: 1
; LDSByteSize: 12288 bytes/workgroup (compile time only)
; SGPRBlocks: 5
; VGPRBlocks: 4
; NumSGPRsForWavesPerEU: 42
; NumVGPRsForWavesPerEU: 37
; Occupancy: 16
; WaveLimiterHint : 1
; COMPUTE_PGM_RSRC2:SCRATCH_EN: 0
; COMPUTE_PGM_RSRC2:USER_SGPR: 14
; COMPUTE_PGM_RSRC2:TRAP_HANDLER: 0
; COMPUTE_PGM_RSRC2:TGID_X_EN: 1
; COMPUTE_PGM_RSRC2:TGID_Y_EN: 1
; COMPUTE_PGM_RSRC2:TGID_Z_EN: 0
; COMPUTE_PGM_RSRC2:TIDIG_COMP_CNT: 1
	.section	.text._ZN9rocsparseL33gebsrmm_large_blockdim_kernel_extILi8ELi8ELi2EdEEv20rocsparse_direction_20rocsparse_operation_iiNS_24const_host_device_scalarIT2_EEPKiS7_PKS4_iiS9_lS5_PS4_l21rocsparse_index_base_b,"axG",@progbits,_ZN9rocsparseL33gebsrmm_large_blockdim_kernel_extILi8ELi8ELi2EdEEv20rocsparse_direction_20rocsparse_operation_iiNS_24const_host_device_scalarIT2_EEPKiS7_PKS4_iiS9_lS5_PS4_l21rocsparse_index_base_b,comdat
	.globl	_ZN9rocsparseL33gebsrmm_large_blockdim_kernel_extILi8ELi8ELi2EdEEv20rocsparse_direction_20rocsparse_operation_iiNS_24const_host_device_scalarIT2_EEPKiS7_PKS4_iiS9_lS5_PS4_l21rocsparse_index_base_b ; -- Begin function _ZN9rocsparseL33gebsrmm_large_blockdim_kernel_extILi8ELi8ELi2EdEEv20rocsparse_direction_20rocsparse_operation_iiNS_24const_host_device_scalarIT2_EEPKiS7_PKS4_iiS9_lS5_PS4_l21rocsparse_index_base_b
	.p2align	8
	.type	_ZN9rocsparseL33gebsrmm_large_blockdim_kernel_extILi8ELi8ELi2EdEEv20rocsparse_direction_20rocsparse_operation_iiNS_24const_host_device_scalarIT2_EEPKiS7_PKS4_iiS9_lS5_PS4_l21rocsparse_index_base_b,@function
_ZN9rocsparseL33gebsrmm_large_blockdim_kernel_extILi8ELi8ELi2EdEEv20rocsparse_direction_20rocsparse_operation_iiNS_24const_host_device_scalarIT2_EEPKiS7_PKS4_iiS9_lS5_PS4_l21rocsparse_index_base_b: ; @_ZN9rocsparseL33gebsrmm_large_blockdim_kernel_extILi8ELi8ELi2EdEEv20rocsparse_direction_20rocsparse_operation_iiNS_24const_host_device_scalarIT2_EEPKiS7_PKS4_iiS9_lS5_PS4_l21rocsparse_index_base_b
; %bb.0:
	s_clause 0x2
	s_load_b64 s[6:7], s[0:1], 0x60
	s_load_b64 s[2:3], s[0:1], 0x10
	s_load_b128 s[8:11], s[0:1], 0x40
	s_waitcnt lgkmcnt(0)
	s_bitcmp1_b32 s7, 0
	v_dual_mov_b32 v5, s3 :: v_dual_mov_b32 v4, s2
	s_cselect_b32 s4, -1, 0
	s_delay_alu instid0(SALU_CYCLE_1)
	s_and_b32 vcc_lo, exec_lo, s4
	s_xor_b32 s4, s4, -1
	s_cbranch_vccnz .LBB3_2
; %bb.1:
	v_dual_mov_b32 v1, s2 :: v_dual_mov_b32 v2, s3
	flat_load_b64 v[4:5], v[1:2]
.LBB3_2:
	v_dual_mov_b32 v6, s10 :: v_dual_mov_b32 v7, s11
	s_and_not1_b32 vcc_lo, exec_lo, s4
	s_cbranch_vccnz .LBB3_4
; %bb.3:
	v_dual_mov_b32 v1, s10 :: v_dual_mov_b32 v2, s11
	flat_load_b64 v[6:7], v[1:2]
.LBB3_4:
	s_waitcnt vmcnt(0) lgkmcnt(0)
	v_cmp_neq_f64_e32 vcc_lo, 0, v[4:5]
	v_cmp_neq_f64_e64 s2, 1.0, v[6:7]
	s_delay_alu instid0(VALU_DEP_1) | instskip(NEXT) | instid1(SALU_CYCLE_1)
	s_or_b32 s2, vcc_lo, s2
	s_and_saveexec_b32 s3, s2
	s_cbranch_execz .LBB3_56
; %bb.5:
	s_load_b128 s[20:23], s[0:1], 0x0
	s_mov_b32 s16, 0
	s_mov_b32 s30, 0
	s_waitcnt lgkmcnt(0)
	s_cmp_lt_i32 s14, s22
	s_cselect_b32 s7, -1, 0
	s_cmp_ge_i32 s14, s22
	s_mov_b32 s22, 0
	s_cbranch_scc1 .LBB3_7
; %bb.6:
	s_load_b64 s[4:5], s[0:1], 0x18
	s_mov_b32 s2, s15
	s_ashr_i32 s15, s14, 31
	s_delay_alu instid0(SALU_CYCLE_1)
	s_lshl_b64 s[10:11], s[14:15], 2
	s_mov_b32 s15, s2
	s_waitcnt lgkmcnt(0)
	s_add_u32 s2, s4, s10
	s_addc_u32 s3, s5, s11
	s_load_b64 s[2:3], s[2:3], 0x0
	s_waitcnt lgkmcnt(0)
	s_sub_i32 s22, s2, s6
	s_sub_i32 s30, s3, s6
.LBB3_7:
	s_clause 0x1
	s_load_b64 s[12:13], s[0:1], 0x30
	s_load_b64 s[10:11], s[0:1], 0x50
	v_bfe_u32 v14, v0, 10, 10
	s_mov_b32 s17, s16
	s_mov_b32 s18, s16
	;; [unrolled: 1-line block ×3, first 2 shown]
	v_and_b32_e32 v12, 0x3ff, v0
	v_lshl_add_u32 v10, s15, 4, v14
	v_dual_mov_b32 v0, s16 :: v_dual_mov_b32 v1, s17
	v_dual_mov_b32 v2, s18 :: v_dual_mov_b32 v3, s19
	s_delay_alu instid0(VALU_DEP_3) | instskip(SKIP_2) | instid1(VALU_DEP_2)
	v_add_nc_u32_e32 v8, 8, v10
	v_cmp_gt_i32_e64 s3, s23, v10
	s_cmp_ge_i32 s22, s30
	v_cmp_gt_i32_e64 s2, s23, v8
	s_waitcnt lgkmcnt(0)
	v_cmp_gt_i32_e64 s4, s12, v12
	s_cbranch_scc1 .LBB3_45
; %bb.8:
	v_mul_lo_u32 v15, v10, s9
	v_ashrrev_i32_e32 v11, 31, v10
	v_ashrrev_i32_e32 v9, 31, v8
	v_cmp_gt_i32_e32 vcc_lo, s13, v14
	s_clause 0x1
	s_load_b128 s[16:19], s[0:1], 0x20
	s_load_b64 s[28:29], s[0:1], 0x38
	v_mad_u64_u32 v[0:1], null, v14, s12, v[12:13]
	v_mul_lo_u32 v16, v11, s8
	v_mad_u64_u32 v[18:19], null, v10, s8, 0
	v_mul_lo_u32 v17, v8, s9
	v_mul_lo_u32 v22, v9, s8
	v_mad_u64_u32 v[20:21], null, v8, s8, 0
	v_mad_u64_u32 v[1:2], null, v12, s13, v[14:15]
	s_and_b32 s15, s4, vcc_lo
	s_cmpk_lg_i32 s21, 0x6f
	v_lshl_add_u32 v13, v12, 3, v14
	s_cselect_b32 s21, -1, 0
	s_cmp_eq_u32 s20, 0
	s_mov_b32 s24, 0
	s_cselect_b32 vcc_lo, -1, 0
	s_cmp_gt_i32 s13, 0
	v_add3_u32 v19, v19, v15, v16
	v_add3_u32 v21, v21, v17, v22
	s_mov_b32 s25, s24
	s_mov_b32 s26, s24
	;; [unrolled: 1-line block ×3, first 2 shown]
	v_lshlrev_b32_e32 v3, 3, v14
	v_lshl_add_u32 v26, v13, 3, 0x400
	s_cselect_b32 s23, -1, 0
	v_dual_cndmask_b32 v13, v0, v1 :: v_dual_lshlrev_b32 v28, 6, v14
	s_and_b32 s20, s3, s23
	s_and_b32 s31, s2, s23
	;; [unrolled: 1-line block ×3, first 2 shown]
	s_cmp_gt_u32 s13, 7
	v_add_lshl_u32 v27, v3, v12, 3
	v_dual_mov_b32 v0, s24 :: v_dual_mov_b32 v3, s27
	v_lshlrev_b64 v[14:15], 3, v[10:11]
	v_lshlrev_b64 v[16:17], 3, v[8:9]
	;; [unrolled: 1-line block ×4, first 2 shown]
	v_cmp_gt_i32_e64 s5, s13, v12
	s_cselect_b32 s34, -1, 0
	s_and_b32 s35, s13, 0x7ffffff8
	v_lshl_add_u32 v29, v12, 6, 0x400
	v_dual_mov_b32 v1, s25 :: v_dual_add_nc_u32 v30, 0x200, v28
	v_mov_b32_e32 v2, s26
	s_cmp_lg_u32 s33, 0
	s_mul_i32 s24, s13, s12
	s_cselect_b32 s25, -1, 0
	s_branch .LBB3_11
.LBB3_9:                                ;   in Loop: Header=BB3_11 Depth=1
	s_or_b32 exec_lo, exec_lo, s26
.LBB3_10:                               ;   in Loop: Header=BB3_11 Depth=1
	s_delay_alu instid0(SALU_CYCLE_1) | instskip(SKIP_1) | instid1(SALU_CYCLE_1)
	s_or_b32 exec_lo, exec_lo, s23
	s_add_i32 s22, s22, 1
	s_cmp_ge_i32 s22, s30
	s_barrier
	buffer_gl0_inv
	s_cbranch_scc1 .LBB3_45
.LBB3_11:                               ; =>This Loop Header: Depth=1
                                        ;     Child Loop BB3_32 Depth 2
                                        ;     Child Loop BB3_36 Depth 2
	;; [unrolled: 1-line block ×4, first 2 shown]
	s_and_saveexec_b32 s26, s5
	s_cbranch_execz .LBB3_26
; %bb.12:                               ;   in Loop: Header=BB3_11 Depth=1
	s_ashr_i32 s23, s22, 31
	s_delay_alu instid0(SALU_CYCLE_1)
	s_lshl_b64 s[36:37], s[22:23], 2
	s_waitcnt lgkmcnt(0)
	s_add_u32 s36, s16, s36
	s_addc_u32 s37, s17, s37
	s_and_not1_b32 vcc_lo, exec_lo, s21
	s_load_b32 s23, s[36:37], 0x0
	s_waitcnt lgkmcnt(0)
	s_sub_i32 s23, s23, s6
	s_delay_alu instid0(SALU_CYCLE_1) | instskip(NEXT) | instid1(VALU_DEP_1)
	v_mad_u64_u32 v[22:23], null, s23, s13, v[12:13]
	v_ashrrev_i32_e32 v23, 31, v22
	s_cbranch_vccnz .LBB3_18
; %bb.13:                               ;   in Loop: Header=BB3_11 Depth=1
	s_delay_alu instid0(VALU_DEP_1) | instskip(SKIP_2) | instid1(VALU_DEP_1)
	v_mul_lo_u32 v9, v23, s8
	v_mul_lo_u32 v11, v22, s9
	v_mad_u64_u32 v[24:25], null, v22, s8, 0
	v_add3_u32 v25, v25, v11, v9
	s_delay_alu instid0(VALU_DEP_1) | instskip(NEXT) | instid1(VALU_DEP_1)
	v_lshlrev_b64 v[24:25], 3, v[24:25]
	v_add_co_u32 v9, vcc_lo, s28, v24
	s_delay_alu instid0(VALU_DEP_2)
	v_add_co_ci_u32_e32 v11, vcc_lo, s29, v25, vcc_lo
	s_and_saveexec_b32 s23, s3
	s_cbranch_execz .LBB3_15
; %bb.14:                               ;   in Loop: Header=BB3_11 Depth=1
	s_delay_alu instid0(VALU_DEP_2) | instskip(NEXT) | instid1(VALU_DEP_2)
	v_add_co_u32 v24, vcc_lo, v9, v14
	v_add_co_ci_u32_e32 v25, vcc_lo, v11, v15, vcc_lo
	global_load_b64 v[24:25], v[24:25], off
	s_waitcnt vmcnt(0)
	ds_store_b64 v27, v[24:25]
.LBB3_15:                               ;   in Loop: Header=BB3_11 Depth=1
	s_or_b32 exec_lo, exec_lo, s23
	s_mov_b32 s27, 0
	s_mov_b32 s23, 0
                                        ; implicit-def: $vgpr24_vgpr25
	s_and_saveexec_b32 s36, s2
	s_delay_alu instid0(SALU_CYCLE_1)
	s_xor_b32 s36, exec_lo, s36
; %bb.16:                               ;   in Loop: Header=BB3_11 Depth=1
	v_add_co_u32 v24, vcc_lo, v9, v16
	v_add_co_ci_u32_e32 v25, vcc_lo, v11, v17, vcc_lo
	s_mov_b32 s23, exec_lo
; %bb.17:                               ;   in Loop: Header=BB3_11 Depth=1
	s_or_b32 exec_lo, exec_lo, s36
	s_delay_alu instid0(SALU_CYCLE_1)
	s_and_b32 vcc_lo, exec_lo, s27
	s_cbranch_vccnz .LBB3_19
	s_branch .LBB3_24
.LBB3_18:                               ;   in Loop: Header=BB3_11 Depth=1
	s_mov_b32 s23, 0
                                        ; implicit-def: $vgpr24_vgpr25
	s_cbranch_execz .LBB3_24
.LBB3_19:                               ;   in Loop: Header=BB3_11 Depth=1
	s_delay_alu instid0(VALU_DEP_1) | instskip(NEXT) | instid1(VALU_DEP_1)
	v_lshlrev_b64 v[22:23], 3, v[22:23]
	v_add_co_u32 v9, vcc_lo, s28, v22
	s_delay_alu instid0(VALU_DEP_2)
	v_add_co_ci_u32_e32 v11, vcc_lo, s29, v23, vcc_lo
	s_and_saveexec_b32 s27, s3
	s_cbranch_execz .LBB3_21
; %bb.20:                               ;   in Loop: Header=BB3_11 Depth=1
	s_delay_alu instid0(VALU_DEP_2) | instskip(NEXT) | instid1(VALU_DEP_2)
	v_add_co_u32 v22, vcc_lo, v9, v18
	v_add_co_ci_u32_e32 v23, vcc_lo, v11, v19, vcc_lo
	global_load_b64 v[22:23], v[22:23], off
	s_waitcnt vmcnt(0)
	ds_store_b64 v27, v[22:23]
.LBB3_21:                               ;   in Loop: Header=BB3_11 Depth=1
	s_or_b32 exec_lo, exec_lo, s27
                                        ; implicit-def: $vgpr24_vgpr25
	s_and_saveexec_b32 s27, s2
; %bb.22:                               ;   in Loop: Header=BB3_11 Depth=1
	v_add_co_u32 v24, vcc_lo, v9, v20
	v_add_co_ci_u32_e32 v25, vcc_lo, v11, v21, vcc_lo
	s_or_b32 s23, s23, exec_lo
; %bb.23:                               ;   in Loop: Header=BB3_11 Depth=1
	s_or_b32 exec_lo, exec_lo, s27
.LBB3_24:                               ;   in Loop: Header=BB3_11 Depth=1
	s_delay_alu instid0(SALU_CYCLE_1)
	s_and_b32 exec_lo, exec_lo, s23
	s_cbranch_execz .LBB3_26
; %bb.25:                               ;   in Loop: Header=BB3_11 Depth=1
	global_load_b64 v[22:23], v[24:25], off
	s_waitcnt vmcnt(0)
	ds_store_b64 v27, v[22:23] offset:512
.LBB3_26:                               ;   in Loop: Header=BB3_11 Depth=1
	s_or_b32 exec_lo, exec_lo, s26
	s_and_saveexec_b32 s23, s15
	s_cbranch_execz .LBB3_28
; %bb.27:                               ;   in Loop: Header=BB3_11 Depth=1
	v_mad_u64_u32 v[22:23], null, s24, s22, v[13:14]
	s_delay_alu instid0(VALU_DEP_1) | instskip(NEXT) | instid1(VALU_DEP_1)
	v_ashrrev_i32_e32 v23, 31, v22
	v_lshlrev_b64 v[22:23], 3, v[22:23]
	s_waitcnt lgkmcnt(0)
	s_delay_alu instid0(VALU_DEP_1) | instskip(NEXT) | instid1(VALU_DEP_2)
	v_add_co_u32 v22, vcc_lo, s18, v22
	v_add_co_ci_u32_e32 v23, vcc_lo, s19, v23, vcc_lo
	global_load_b64 v[22:23], v[22:23], off
	s_waitcnt vmcnt(0)
	ds_store_b64 v26, v[22:23]
.LBB3_28:                               ;   in Loop: Header=BB3_11 Depth=1
	s_or_b32 exec_lo, exec_lo, s23
	s_waitcnt lgkmcnt(0)
	s_barrier
	buffer_gl0_inv
	s_and_saveexec_b32 s23, s4
	s_cbranch_execz .LBB3_10
; %bb.29:                               ;   in Loop: Header=BB3_11 Depth=1
	s_and_saveexec_b32 s26, s20
	s_cbranch_execz .LBB3_37
; %bb.30:                               ;   in Loop: Header=BB3_11 Depth=1
	s_and_not1_b32 vcc_lo, exec_lo, s34
	s_cbranch_vccnz .LBB3_34
; %bb.31:                               ;   in Loop: Header=BB3_11 Depth=1
	v_mov_b32_e32 v9, v29
	v_mov_b32_e32 v11, v28
	s_mov_b32 s27, 0
	s_set_inst_prefetch_distance 0x1
	.p2align	6
.LBB3_32:                               ;   Parent Loop BB3_11 Depth=1
                                        ; =>  This Inner Loop Header: Depth=2
	ds_load_b128 v[22:25], v11
	ds_load_b128 v[31:34], v9
	ds_load_b128 v[35:38], v9 offset:16
	ds_load_b128 v[39:42], v11 offset:16
	s_add_i32 s27, s27, 8
	s_delay_alu instid0(SALU_CYCLE_1) | instskip(SKIP_2) | instid1(VALU_DEP_1)
	s_cmp_lg_u32 s35, s27
	s_waitcnt lgkmcnt(2)
	v_fma_f64 v[0:1], v[31:32], v[22:23], v[0:1]
	v_fma_f64 v[0:1], v[33:34], v[24:25], v[0:1]
	s_waitcnt lgkmcnt(0)
	s_delay_alu instid0(VALU_DEP_1) | instskip(NEXT) | instid1(VALU_DEP_1)
	v_fma_f64 v[0:1], v[35:36], v[39:40], v[0:1]
	v_fma_f64 v[0:1], v[37:38], v[41:42], v[0:1]
	ds_load_b128 v[22:25], v11 offset:32
	ds_load_b128 v[31:34], v9 offset:32
	ds_load_b128 v[35:38], v9 offset:48
	ds_load_b128 v[39:42], v11 offset:48
	v_add_nc_u32_e32 v11, 64, v11
	v_add_nc_u32_e32 v9, 64, v9
	s_waitcnt lgkmcnt(2)
	v_fma_f64 v[0:1], v[31:32], v[22:23], v[0:1]
	s_delay_alu instid0(VALU_DEP_1) | instskip(SKIP_1) | instid1(VALU_DEP_1)
	v_fma_f64 v[0:1], v[33:34], v[24:25], v[0:1]
	s_waitcnt lgkmcnt(0)
	v_fma_f64 v[0:1], v[35:36], v[39:40], v[0:1]
	s_delay_alu instid0(VALU_DEP_1)
	v_fma_f64 v[0:1], v[37:38], v[41:42], v[0:1]
	s_cbranch_scc1 .LBB3_32
; %bb.33:                               ;   in Loop: Header=BB3_11 Depth=1
	s_set_inst_prefetch_distance 0x2
	s_mov_b32 s27, s35
	s_and_not1_b32 vcc_lo, exec_lo, s25
	s_cbranch_vccz .LBB3_35
	s_branch .LBB3_37
.LBB3_34:                               ;   in Loop: Header=BB3_11 Depth=1
	s_mov_b32 s27, 0
	s_and_not1_b32 vcc_lo, exec_lo, s25
	s_cbranch_vccnz .LBB3_37
.LBB3_35:                               ;   in Loop: Header=BB3_11 Depth=1
	s_lshl_b32 s27, s27, 3
	s_delay_alu instid0(SALU_CYCLE_1)
	v_add_nc_u32_e32 v9, s27, v28
	v_add_nc_u32_e32 v11, s27, v29
	s_mov_b32 s27, s33
.LBB3_36:                               ;   Parent Loop BB3_11 Depth=1
                                        ; =>  This Inner Loop Header: Depth=2
	ds_load_b64 v[22:23], v11
	ds_load_b64 v[24:25], v9
	v_add_nc_u32_e32 v9, 8, v9
	v_add_nc_u32_e32 v11, 8, v11
	s_add_i32 s27, s27, -1
	s_delay_alu instid0(SALU_CYCLE_1)
	s_cmp_lg_u32 s27, 0
	s_waitcnt lgkmcnt(0)
	v_fma_f64 v[0:1], v[22:23], v[24:25], v[0:1]
	s_cbranch_scc1 .LBB3_36
.LBB3_37:                               ;   in Loop: Header=BB3_11 Depth=1
	s_or_b32 exec_lo, exec_lo, s26
	s_and_saveexec_b32 s26, s31
	s_cbranch_execz .LBB3_9
; %bb.38:                               ;   in Loop: Header=BB3_11 Depth=1
	s_and_not1_b32 vcc_lo, exec_lo, s34
	s_cbranch_vccnz .LBB3_42
; %bb.39:                               ;   in Loop: Header=BB3_11 Depth=1
	v_mov_b32_e32 v9, v29
	v_mov_b32_e32 v11, v30
	s_mov_b32 s27, 0
	s_set_inst_prefetch_distance 0x1
	.p2align	6
.LBB3_40:                               ;   Parent Loop BB3_11 Depth=1
                                        ; =>  This Inner Loop Header: Depth=2
	ds_load_b128 v[22:25], v11
	ds_load_b128 v[31:34], v9
	ds_load_b128 v[35:38], v9 offset:16
	ds_load_b128 v[39:42], v11 offset:16
	s_add_i32 s27, s27, 8
	s_delay_alu instid0(SALU_CYCLE_1) | instskip(SKIP_2) | instid1(VALU_DEP_1)
	s_cmp_lg_u32 s35, s27
	s_waitcnt lgkmcnt(2)
	v_fma_f64 v[2:3], v[31:32], v[22:23], v[2:3]
	v_fma_f64 v[2:3], v[33:34], v[24:25], v[2:3]
	s_waitcnt lgkmcnt(0)
	s_delay_alu instid0(VALU_DEP_1) | instskip(NEXT) | instid1(VALU_DEP_1)
	v_fma_f64 v[2:3], v[35:36], v[39:40], v[2:3]
	v_fma_f64 v[2:3], v[37:38], v[41:42], v[2:3]
	ds_load_b128 v[22:25], v11 offset:32
	ds_load_b128 v[31:34], v9 offset:32
	;; [unrolled: 1-line block ×4, first 2 shown]
	v_add_nc_u32_e32 v11, 64, v11
	v_add_nc_u32_e32 v9, 64, v9
	s_waitcnt lgkmcnt(2)
	v_fma_f64 v[2:3], v[31:32], v[22:23], v[2:3]
	s_delay_alu instid0(VALU_DEP_1) | instskip(SKIP_1) | instid1(VALU_DEP_1)
	v_fma_f64 v[2:3], v[33:34], v[24:25], v[2:3]
	s_waitcnt lgkmcnt(0)
	v_fma_f64 v[2:3], v[35:36], v[39:40], v[2:3]
	s_delay_alu instid0(VALU_DEP_1)
	v_fma_f64 v[2:3], v[37:38], v[41:42], v[2:3]
	s_cbranch_scc1 .LBB3_40
; %bb.41:                               ;   in Loop: Header=BB3_11 Depth=1
	s_set_inst_prefetch_distance 0x2
	s_mov_b32 s27, s35
	s_and_not1_b32 vcc_lo, exec_lo, s25
	s_cbranch_vccz .LBB3_43
	s_branch .LBB3_9
.LBB3_42:                               ;   in Loop: Header=BB3_11 Depth=1
	s_mov_b32 s27, 0
	s_and_not1_b32 vcc_lo, exec_lo, s25
	s_cbranch_vccnz .LBB3_9
.LBB3_43:                               ;   in Loop: Header=BB3_11 Depth=1
	s_lshl_b32 s27, s27, 3
	s_delay_alu instid0(SALU_CYCLE_1)
	v_add_nc_u32_e32 v9, s27, v30
	v_add_nc_u32_e32 v11, s27, v29
	s_mov_b32 s27, s33
.LBB3_44:                               ;   Parent Loop BB3_11 Depth=1
                                        ; =>  This Inner Loop Header: Depth=2
	ds_load_b64 v[22:23], v11
	ds_load_b64 v[24:25], v9
	v_add_nc_u32_e32 v9, 8, v9
	v_add_nc_u32_e32 v11, 8, v11
	s_add_i32 s27, s27, -1
	s_delay_alu instid0(SALU_CYCLE_1)
	s_cmp_lg_u32 s27, 0
	s_waitcnt lgkmcnt(0)
	v_fma_f64 v[2:3], v[22:23], v[24:25], v[2:3]
	s_cbranch_scc1 .LBB3_44
	s_branch .LBB3_9
.LBB3_45:
	s_delay_alu instid0(VALU_DEP_1) | instskip(NEXT) | instid1(SALU_CYCLE_1)
	s_and_b32 s4, s7, s4
	s_and_b32 exec_lo, exec_lo, s4
	s_cbranch_execz .LBB3_56
; %bb.46:
	v_cmp_neq_f64_e32 vcc_lo, 0, v[6:7]
	v_mad_u64_u32 v[13:14], null, s14, s12, v[12:13]
	s_load_b64 s[4:5], s[0:1], 0x58
	s_delay_alu instid0(VALU_DEP_1) | instskip(NEXT) | instid1(VALU_DEP_1)
	v_ashrrev_i32_e32 v14, 31, v13
	v_lshlrev_b64 v[11:12], 3, v[13:14]
	s_delay_alu instid0(VALU_DEP_1) | instskip(NEXT) | instid1(VALU_DEP_1)
	v_add_co_u32 v9, s0, s10, v11
	v_add_co_ci_u32_e64 v11, s0, s11, v12, s0
	s_and_saveexec_b32 s1, s3
	s_cbranch_execz .LBB3_51
; %bb.47:
	s_and_saveexec_b32 s0, vcc_lo
	s_delay_alu instid0(SALU_CYCLE_1)
	s_xor_b32 s3, exec_lo, s0
	s_cbranch_execz .LBB3_49
; %bb.48:
	v_ashrrev_i32_e32 v14, 31, v10
	s_waitcnt lgkmcnt(0)
	v_mul_lo_u32 v15, v10, s5
	v_mad_u64_u32 v[12:13], null, v10, s4, 0
	v_mul_f64 v[16:17], v[4:5], v[0:1]
	v_mul_lo_u32 v10, v14, s4
	s_delay_alu instid0(VALU_DEP_1) | instskip(NEXT) | instid1(VALU_DEP_1)
	v_add3_u32 v13, v13, v15, v10
                                        ; implicit-def: $vgpr10
	v_lshlrev_b64 v[12:13], 3, v[12:13]
	s_delay_alu instid0(VALU_DEP_1) | instskip(NEXT) | instid1(VALU_DEP_1)
	v_add_co_u32 v12, s0, v9, v12
	v_add_co_ci_u32_e64 v13, s0, v11, v13, s0
	global_load_b64 v[14:15], v[12:13], off
	s_waitcnt vmcnt(0)
	v_fma_f64 v[14:15], v[6:7], v[14:15], v[16:17]
	global_store_b64 v[12:13], v[14:15], off
.LBB3_49:
	s_and_not1_saveexec_b32 s0, s3
	s_cbranch_execz .LBB3_51
; %bb.50:
	v_mul_f64 v[0:1], v[4:5], v[0:1]
	v_ashrrev_i32_e32 v12, 31, v10
	s_waitcnt lgkmcnt(0)
	v_mul_lo_u32 v14, v10, s5
	s_delay_alu instid0(VALU_DEP_2) | instskip(SKIP_1) | instid1(VALU_DEP_1)
	v_mul_lo_u32 v15, v12, s4
	v_mad_u64_u32 v[12:13], null, v10, s4, 0
	v_add3_u32 v13, v13, v14, v15
	s_delay_alu instid0(VALU_DEP_1) | instskip(NEXT) | instid1(VALU_DEP_1)
	v_lshlrev_b64 v[12:13], 3, v[12:13]
	v_add_co_u32 v12, s0, v9, v12
	s_delay_alu instid0(VALU_DEP_1)
	v_add_co_ci_u32_e64 v13, s0, v11, v13, s0
	global_store_b64 v[12:13], v[0:1], off
.LBB3_51:
	s_or_b32 exec_lo, exec_lo, s1
	s_delay_alu instid0(SALU_CYCLE_1)
	s_and_b32 exec_lo, exec_lo, s2
	s_cbranch_execz .LBB3_56
; %bb.52:
	s_and_saveexec_b32 s0, vcc_lo
	s_delay_alu instid0(SALU_CYCLE_1)
	s_xor_b32 s0, exec_lo, s0
	s_cbranch_execz .LBB3_54
; %bb.53:
	v_ashrrev_i32_e32 v10, 31, v8
	s_waitcnt lgkmcnt(0)
	v_mul_lo_u32 v12, v8, s5
	v_mad_u64_u32 v[0:1], null, v8, s4, 0
	v_mul_f64 v[2:3], v[4:5], v[2:3]
	v_mul_lo_u32 v8, v10, s4
                                        ; implicit-def: $vgpr4_vgpr5
	s_delay_alu instid0(VALU_DEP_1) | instskip(NEXT) | instid1(VALU_DEP_1)
	v_add3_u32 v1, v1, v12, v8
	v_lshlrev_b64 v[0:1], 3, v[0:1]
	s_delay_alu instid0(VALU_DEP_1) | instskip(NEXT) | instid1(VALU_DEP_2)
	v_add_co_u32 v0, vcc_lo, v9, v0
	v_add_co_ci_u32_e32 v1, vcc_lo, v11, v1, vcc_lo
                                        ; implicit-def: $vgpr11
	global_load_b64 v[8:9], v[0:1], off
	s_waitcnt vmcnt(0)
	v_fma_f64 v[2:3], v[6:7], v[8:9], v[2:3]
                                        ; implicit-def: $vgpr8
                                        ; implicit-def: $vgpr9
	global_store_b64 v[0:1], v[2:3], off
                                        ; implicit-def: $vgpr0_vgpr1_vgpr2_vgpr3
.LBB3_54:
	s_and_not1_saveexec_b32 s0, s0
	s_cbranch_execz .LBB3_56
; %bb.55:
	v_mul_f64 v[0:1], v[4:5], v[2:3]
	v_ashrrev_i32_e32 v2, 31, v8
	s_waitcnt lgkmcnt(0)
	v_mul_lo_u32 v4, v8, s5
	s_delay_alu instid0(VALU_DEP_2) | instskip(SKIP_1) | instid1(VALU_DEP_1)
	v_mul_lo_u32 v5, v2, s4
	v_mad_u64_u32 v[2:3], null, v8, s4, 0
	v_add3_u32 v3, v3, v4, v5
	s_delay_alu instid0(VALU_DEP_1) | instskip(NEXT) | instid1(VALU_DEP_1)
	v_lshlrev_b64 v[2:3], 3, v[2:3]
	v_add_co_u32 v2, vcc_lo, v9, v2
	s_delay_alu instid0(VALU_DEP_2)
	v_add_co_ci_u32_e32 v3, vcc_lo, v11, v3, vcc_lo
	global_store_b64 v[2:3], v[0:1], off
.LBB3_56:
	s_nop 0
	s_sendmsg sendmsg(MSG_DEALLOC_VGPRS)
	s_endpgm
	.section	.rodata,"a",@progbits
	.p2align	6, 0x0
	.amdhsa_kernel _ZN9rocsparseL33gebsrmm_large_blockdim_kernel_extILi8ELi8ELi2EdEEv20rocsparse_direction_20rocsparse_operation_iiNS_24const_host_device_scalarIT2_EEPKiS7_PKS4_iiS9_lS5_PS4_l21rocsparse_index_base_b
		.amdhsa_group_segment_fixed_size 1536
		.amdhsa_private_segment_fixed_size 0
		.amdhsa_kernarg_size 104
		.amdhsa_user_sgpr_count 14
		.amdhsa_user_sgpr_dispatch_ptr 0
		.amdhsa_user_sgpr_queue_ptr 0
		.amdhsa_user_sgpr_kernarg_segment_ptr 1
		.amdhsa_user_sgpr_dispatch_id 0
		.amdhsa_user_sgpr_private_segment_size 0
		.amdhsa_wavefront_size32 1
		.amdhsa_uses_dynamic_stack 0
		.amdhsa_enable_private_segment 0
		.amdhsa_system_sgpr_workgroup_id_x 1
		.amdhsa_system_sgpr_workgroup_id_y 1
		.amdhsa_system_sgpr_workgroup_id_z 0
		.amdhsa_system_sgpr_workgroup_info 0
		.amdhsa_system_vgpr_workitem_id 1
		.amdhsa_next_free_vgpr 43
		.amdhsa_next_free_sgpr 38
		.amdhsa_reserve_vcc 1
		.amdhsa_float_round_mode_32 0
		.amdhsa_float_round_mode_16_64 0
		.amdhsa_float_denorm_mode_32 3
		.amdhsa_float_denorm_mode_16_64 3
		.amdhsa_dx10_clamp 1
		.amdhsa_ieee_mode 1
		.amdhsa_fp16_overflow 0
		.amdhsa_workgroup_processor_mode 1
		.amdhsa_memory_ordered 1
		.amdhsa_forward_progress 0
		.amdhsa_shared_vgpr_count 0
		.amdhsa_exception_fp_ieee_invalid_op 0
		.amdhsa_exception_fp_denorm_src 0
		.amdhsa_exception_fp_ieee_div_zero 0
		.amdhsa_exception_fp_ieee_overflow 0
		.amdhsa_exception_fp_ieee_underflow 0
		.amdhsa_exception_fp_ieee_inexact 0
		.amdhsa_exception_int_div_zero 0
	.end_amdhsa_kernel
	.section	.text._ZN9rocsparseL33gebsrmm_large_blockdim_kernel_extILi8ELi8ELi2EdEEv20rocsparse_direction_20rocsparse_operation_iiNS_24const_host_device_scalarIT2_EEPKiS7_PKS4_iiS9_lS5_PS4_l21rocsparse_index_base_b,"axG",@progbits,_ZN9rocsparseL33gebsrmm_large_blockdim_kernel_extILi8ELi8ELi2EdEEv20rocsparse_direction_20rocsparse_operation_iiNS_24const_host_device_scalarIT2_EEPKiS7_PKS4_iiS9_lS5_PS4_l21rocsparse_index_base_b,comdat
.Lfunc_end3:
	.size	_ZN9rocsparseL33gebsrmm_large_blockdim_kernel_extILi8ELi8ELi2EdEEv20rocsparse_direction_20rocsparse_operation_iiNS_24const_host_device_scalarIT2_EEPKiS7_PKS4_iiS9_lS5_PS4_l21rocsparse_index_base_b, .Lfunc_end3-_ZN9rocsparseL33gebsrmm_large_blockdim_kernel_extILi8ELi8ELi2EdEEv20rocsparse_direction_20rocsparse_operation_iiNS_24const_host_device_scalarIT2_EEPKiS7_PKS4_iiS9_lS5_PS4_l21rocsparse_index_base_b
                                        ; -- End function
	.section	.AMDGPU.csdata,"",@progbits
; Kernel info:
; codeLenInByte = 2384
; NumSgprs: 40
; NumVgprs: 43
; ScratchSize: 0
; MemoryBound: 0
; FloatMode: 240
; IeeeMode: 1
; LDSByteSize: 1536 bytes/workgroup (compile time only)
; SGPRBlocks: 4
; VGPRBlocks: 5
; NumSGPRsForWavesPerEU: 40
; NumVGPRsForWavesPerEU: 43
; Occupancy: 16
; WaveLimiterHint : 1
; COMPUTE_PGM_RSRC2:SCRATCH_EN: 0
; COMPUTE_PGM_RSRC2:USER_SGPR: 14
; COMPUTE_PGM_RSRC2:TRAP_HANDLER: 0
; COMPUTE_PGM_RSRC2:TGID_X_EN: 1
; COMPUTE_PGM_RSRC2:TGID_Y_EN: 1
; COMPUTE_PGM_RSRC2:TGID_Z_EN: 0
; COMPUTE_PGM_RSRC2:TIDIG_COMP_CNT: 1
	.section	.text._ZN9rocsparseL33gebsrmm_large_blockdim_kernel_extILi16ELi16ELi2EdEEv20rocsparse_direction_20rocsparse_operation_iiNS_24const_host_device_scalarIT2_EEPKiS7_PKS4_iiS9_lS5_PS4_l21rocsparse_index_base_b,"axG",@progbits,_ZN9rocsparseL33gebsrmm_large_blockdim_kernel_extILi16ELi16ELi2EdEEv20rocsparse_direction_20rocsparse_operation_iiNS_24const_host_device_scalarIT2_EEPKiS7_PKS4_iiS9_lS5_PS4_l21rocsparse_index_base_b,comdat
	.globl	_ZN9rocsparseL33gebsrmm_large_blockdim_kernel_extILi16ELi16ELi2EdEEv20rocsparse_direction_20rocsparse_operation_iiNS_24const_host_device_scalarIT2_EEPKiS7_PKS4_iiS9_lS5_PS4_l21rocsparse_index_base_b ; -- Begin function _ZN9rocsparseL33gebsrmm_large_blockdim_kernel_extILi16ELi16ELi2EdEEv20rocsparse_direction_20rocsparse_operation_iiNS_24const_host_device_scalarIT2_EEPKiS7_PKS4_iiS9_lS5_PS4_l21rocsparse_index_base_b
	.p2align	8
	.type	_ZN9rocsparseL33gebsrmm_large_blockdim_kernel_extILi16ELi16ELi2EdEEv20rocsparse_direction_20rocsparse_operation_iiNS_24const_host_device_scalarIT2_EEPKiS7_PKS4_iiS9_lS5_PS4_l21rocsparse_index_base_b,@function
_ZN9rocsparseL33gebsrmm_large_blockdim_kernel_extILi16ELi16ELi2EdEEv20rocsparse_direction_20rocsparse_operation_iiNS_24const_host_device_scalarIT2_EEPKiS7_PKS4_iiS9_lS5_PS4_l21rocsparse_index_base_b: ; @_ZN9rocsparseL33gebsrmm_large_blockdim_kernel_extILi16ELi16ELi2EdEEv20rocsparse_direction_20rocsparse_operation_iiNS_24const_host_device_scalarIT2_EEPKiS7_PKS4_iiS9_lS5_PS4_l21rocsparse_index_base_b
; %bb.0:
	s_clause 0x2
	s_load_b64 s[6:7], s[0:1], 0x60
	s_load_b64 s[2:3], s[0:1], 0x10
	s_load_b128 s[8:11], s[0:1], 0x40
	s_waitcnt lgkmcnt(0)
	s_bitcmp1_b32 s7, 0
	v_dual_mov_b32 v5, s3 :: v_dual_mov_b32 v4, s2
	s_cselect_b32 s4, -1, 0
	s_delay_alu instid0(SALU_CYCLE_1)
	s_and_b32 vcc_lo, exec_lo, s4
	s_xor_b32 s4, s4, -1
	s_cbranch_vccnz .LBB4_2
; %bb.1:
	v_dual_mov_b32 v1, s2 :: v_dual_mov_b32 v2, s3
	flat_load_b64 v[4:5], v[1:2]
.LBB4_2:
	v_dual_mov_b32 v6, s10 :: v_dual_mov_b32 v7, s11
	s_and_not1_b32 vcc_lo, exec_lo, s4
	s_cbranch_vccnz .LBB4_4
; %bb.3:
	v_dual_mov_b32 v1, s10 :: v_dual_mov_b32 v2, s11
	flat_load_b64 v[6:7], v[1:2]
.LBB4_4:
	s_waitcnt vmcnt(0) lgkmcnt(0)
	v_cmp_neq_f64_e32 vcc_lo, 0, v[4:5]
	v_cmp_neq_f64_e64 s2, 1.0, v[6:7]
	s_delay_alu instid0(VALU_DEP_1) | instskip(NEXT) | instid1(SALU_CYCLE_1)
	s_or_b32 s2, vcc_lo, s2
	s_and_saveexec_b32 s3, s2
	s_cbranch_execz .LBB4_56
; %bb.5:
	s_load_b128 s[20:23], s[0:1], 0x0
	s_mov_b32 s16, 0
	s_mov_b32 s30, 0
	s_waitcnt lgkmcnt(0)
	s_cmp_lt_i32 s14, s22
	s_cselect_b32 s7, -1, 0
	s_cmp_ge_i32 s14, s22
	s_mov_b32 s22, 0
	s_cbranch_scc1 .LBB4_7
; %bb.6:
	s_load_b64 s[4:5], s[0:1], 0x18
	s_mov_b32 s2, s15
	s_ashr_i32 s15, s14, 31
	s_delay_alu instid0(SALU_CYCLE_1)
	s_lshl_b64 s[10:11], s[14:15], 2
	s_mov_b32 s15, s2
	s_waitcnt lgkmcnt(0)
	s_add_u32 s2, s4, s10
	s_addc_u32 s3, s5, s11
	s_load_b64 s[2:3], s[2:3], 0x0
	s_waitcnt lgkmcnt(0)
	s_sub_i32 s22, s2, s6
	s_sub_i32 s30, s3, s6
.LBB4_7:
	s_clause 0x1
	s_load_b64 s[12:13], s[0:1], 0x30
	s_load_b64 s[10:11], s[0:1], 0x50
	v_bfe_u32 v14, v0, 10, 10
	s_mov_b32 s17, s16
	s_mov_b32 s18, s16
	;; [unrolled: 1-line block ×3, first 2 shown]
	v_and_b32_e32 v12, 0x3ff, v0
	v_lshl_add_u32 v10, s15, 5, v14
	v_dual_mov_b32 v0, s16 :: v_dual_mov_b32 v1, s17
	v_dual_mov_b32 v2, s18 :: v_dual_mov_b32 v3, s19
	s_delay_alu instid0(VALU_DEP_3) | instskip(SKIP_2) | instid1(VALU_DEP_2)
	v_add_nc_u32_e32 v8, 16, v10
	v_cmp_gt_i32_e64 s3, s23, v10
	s_cmp_ge_i32 s22, s30
	v_cmp_gt_i32_e64 s2, s23, v8
	s_waitcnt lgkmcnt(0)
	v_cmp_gt_i32_e64 s4, s12, v12
	s_cbranch_scc1 .LBB4_45
; %bb.8:
	v_mul_lo_u32 v15, v10, s9
	v_ashrrev_i32_e32 v11, 31, v10
	v_ashrrev_i32_e32 v9, 31, v8
	v_cmp_gt_i32_e32 vcc_lo, s13, v14
	s_clause 0x1
	s_load_b128 s[16:19], s[0:1], 0x20
	s_load_b64 s[28:29], s[0:1], 0x38
	v_mad_u64_u32 v[0:1], null, v14, s12, v[12:13]
	v_mul_lo_u32 v16, v11, s8
	v_mad_u64_u32 v[18:19], null, v10, s8, 0
	v_mul_lo_u32 v17, v8, s9
	v_mul_lo_u32 v22, v9, s8
	v_mad_u64_u32 v[20:21], null, v8, s8, 0
	v_mad_u64_u32 v[1:2], null, v12, s13, v[14:15]
	s_and_b32 s15, s4, vcc_lo
	s_cmpk_lg_i32 s21, 0x6f
	v_lshl_add_u32 v13, v12, 4, v14
	s_cselect_b32 s21, -1, 0
	s_cmp_eq_u32 s20, 0
	s_mov_b32 s24, 0
	s_cselect_b32 vcc_lo, -1, 0
	s_cmp_gt_i32 s13, 0
	v_add3_u32 v19, v19, v15, v16
	v_add3_u32 v21, v21, v17, v22
	s_mov_b32 s25, s24
	s_mov_b32 s26, s24
	s_mov_b32 s27, s24
	v_lshlrev_b32_e32 v3, 4, v14
	v_lshl_add_u32 v26, v13, 3, 0x1000
	s_cselect_b32 s23, -1, 0
	v_dual_cndmask_b32 v13, v0, v1 :: v_dual_lshlrev_b32 v28, 7, v14
	s_and_b32 s20, s3, s23
	s_and_b32 s31, s2, s23
	;; [unrolled: 1-line block ×3, first 2 shown]
	s_cmp_gt_u32 s13, 7
	v_add_lshl_u32 v27, v3, v12, 3
	v_dual_mov_b32 v0, s24 :: v_dual_mov_b32 v3, s27
	v_lshlrev_b64 v[14:15], 3, v[10:11]
	v_lshlrev_b64 v[16:17], 3, v[8:9]
	;; [unrolled: 1-line block ×4, first 2 shown]
	v_cmp_gt_i32_e64 s5, s13, v12
	s_cselect_b32 s34, -1, 0
	s_and_b32 s35, s13, 0x7ffffff8
	v_lshl_add_u32 v29, v12, 7, 0x1000
	v_dual_mov_b32 v1, s25 :: v_dual_add_nc_u32 v30, 0x800, v28
	v_mov_b32_e32 v2, s26
	s_cmp_lg_u32 s33, 0
	s_mul_i32 s24, s13, s12
	s_cselect_b32 s25, -1, 0
	s_branch .LBB4_11
.LBB4_9:                                ;   in Loop: Header=BB4_11 Depth=1
	s_or_b32 exec_lo, exec_lo, s26
.LBB4_10:                               ;   in Loop: Header=BB4_11 Depth=1
	s_delay_alu instid0(SALU_CYCLE_1) | instskip(SKIP_1) | instid1(SALU_CYCLE_1)
	s_or_b32 exec_lo, exec_lo, s23
	s_add_i32 s22, s22, 1
	s_cmp_ge_i32 s22, s30
	s_barrier
	buffer_gl0_inv
	s_cbranch_scc1 .LBB4_45
.LBB4_11:                               ; =>This Loop Header: Depth=1
                                        ;     Child Loop BB4_32 Depth 2
                                        ;     Child Loop BB4_36 Depth 2
	;; [unrolled: 1-line block ×4, first 2 shown]
	s_and_saveexec_b32 s26, s5
	s_cbranch_execz .LBB4_26
; %bb.12:                               ;   in Loop: Header=BB4_11 Depth=1
	s_ashr_i32 s23, s22, 31
	s_delay_alu instid0(SALU_CYCLE_1)
	s_lshl_b64 s[36:37], s[22:23], 2
	s_waitcnt lgkmcnt(0)
	s_add_u32 s36, s16, s36
	s_addc_u32 s37, s17, s37
	s_and_not1_b32 vcc_lo, exec_lo, s21
	s_load_b32 s23, s[36:37], 0x0
	s_waitcnt lgkmcnt(0)
	s_sub_i32 s23, s23, s6
	s_delay_alu instid0(SALU_CYCLE_1) | instskip(NEXT) | instid1(VALU_DEP_1)
	v_mad_u64_u32 v[22:23], null, s23, s13, v[12:13]
	v_ashrrev_i32_e32 v23, 31, v22
	s_cbranch_vccnz .LBB4_18
; %bb.13:                               ;   in Loop: Header=BB4_11 Depth=1
	s_delay_alu instid0(VALU_DEP_1) | instskip(SKIP_2) | instid1(VALU_DEP_1)
	v_mul_lo_u32 v9, v23, s8
	v_mul_lo_u32 v11, v22, s9
	v_mad_u64_u32 v[24:25], null, v22, s8, 0
	v_add3_u32 v25, v25, v11, v9
	s_delay_alu instid0(VALU_DEP_1) | instskip(NEXT) | instid1(VALU_DEP_1)
	v_lshlrev_b64 v[24:25], 3, v[24:25]
	v_add_co_u32 v9, vcc_lo, s28, v24
	s_delay_alu instid0(VALU_DEP_2)
	v_add_co_ci_u32_e32 v11, vcc_lo, s29, v25, vcc_lo
	s_and_saveexec_b32 s23, s3
	s_cbranch_execz .LBB4_15
; %bb.14:                               ;   in Loop: Header=BB4_11 Depth=1
	s_delay_alu instid0(VALU_DEP_2) | instskip(NEXT) | instid1(VALU_DEP_2)
	v_add_co_u32 v24, vcc_lo, v9, v14
	v_add_co_ci_u32_e32 v25, vcc_lo, v11, v15, vcc_lo
	global_load_b64 v[24:25], v[24:25], off
	s_waitcnt vmcnt(0)
	ds_store_b64 v27, v[24:25]
.LBB4_15:                               ;   in Loop: Header=BB4_11 Depth=1
	s_or_b32 exec_lo, exec_lo, s23
	s_mov_b32 s27, 0
	s_mov_b32 s23, 0
                                        ; implicit-def: $vgpr24_vgpr25
	s_and_saveexec_b32 s36, s2
	s_delay_alu instid0(SALU_CYCLE_1)
	s_xor_b32 s36, exec_lo, s36
; %bb.16:                               ;   in Loop: Header=BB4_11 Depth=1
	v_add_co_u32 v24, vcc_lo, v9, v16
	v_add_co_ci_u32_e32 v25, vcc_lo, v11, v17, vcc_lo
	s_mov_b32 s23, exec_lo
; %bb.17:                               ;   in Loop: Header=BB4_11 Depth=1
	s_or_b32 exec_lo, exec_lo, s36
	s_delay_alu instid0(SALU_CYCLE_1)
	s_and_b32 vcc_lo, exec_lo, s27
	s_cbranch_vccnz .LBB4_19
	s_branch .LBB4_24
.LBB4_18:                               ;   in Loop: Header=BB4_11 Depth=1
	s_mov_b32 s23, 0
                                        ; implicit-def: $vgpr24_vgpr25
	s_cbranch_execz .LBB4_24
.LBB4_19:                               ;   in Loop: Header=BB4_11 Depth=1
	s_delay_alu instid0(VALU_DEP_1) | instskip(NEXT) | instid1(VALU_DEP_1)
	v_lshlrev_b64 v[22:23], 3, v[22:23]
	v_add_co_u32 v9, vcc_lo, s28, v22
	s_delay_alu instid0(VALU_DEP_2)
	v_add_co_ci_u32_e32 v11, vcc_lo, s29, v23, vcc_lo
	s_and_saveexec_b32 s27, s3
	s_cbranch_execz .LBB4_21
; %bb.20:                               ;   in Loop: Header=BB4_11 Depth=1
	s_delay_alu instid0(VALU_DEP_2) | instskip(NEXT) | instid1(VALU_DEP_2)
	v_add_co_u32 v22, vcc_lo, v9, v18
	v_add_co_ci_u32_e32 v23, vcc_lo, v11, v19, vcc_lo
	global_load_b64 v[22:23], v[22:23], off
	s_waitcnt vmcnt(0)
	ds_store_b64 v27, v[22:23]
.LBB4_21:                               ;   in Loop: Header=BB4_11 Depth=1
	s_or_b32 exec_lo, exec_lo, s27
                                        ; implicit-def: $vgpr24_vgpr25
	s_and_saveexec_b32 s27, s2
; %bb.22:                               ;   in Loop: Header=BB4_11 Depth=1
	v_add_co_u32 v24, vcc_lo, v9, v20
	v_add_co_ci_u32_e32 v25, vcc_lo, v11, v21, vcc_lo
	s_or_b32 s23, s23, exec_lo
; %bb.23:                               ;   in Loop: Header=BB4_11 Depth=1
	s_or_b32 exec_lo, exec_lo, s27
.LBB4_24:                               ;   in Loop: Header=BB4_11 Depth=1
	s_delay_alu instid0(SALU_CYCLE_1)
	s_and_b32 exec_lo, exec_lo, s23
	s_cbranch_execz .LBB4_26
; %bb.25:                               ;   in Loop: Header=BB4_11 Depth=1
	global_load_b64 v[22:23], v[24:25], off
	s_waitcnt vmcnt(0)
	ds_store_b64 v27, v[22:23] offset:2048
.LBB4_26:                               ;   in Loop: Header=BB4_11 Depth=1
	s_or_b32 exec_lo, exec_lo, s26
	s_and_saveexec_b32 s23, s15
	s_cbranch_execz .LBB4_28
; %bb.27:                               ;   in Loop: Header=BB4_11 Depth=1
	v_mad_u64_u32 v[22:23], null, s24, s22, v[13:14]
	s_delay_alu instid0(VALU_DEP_1) | instskip(NEXT) | instid1(VALU_DEP_1)
	v_ashrrev_i32_e32 v23, 31, v22
	v_lshlrev_b64 v[22:23], 3, v[22:23]
	s_waitcnt lgkmcnt(0)
	s_delay_alu instid0(VALU_DEP_1) | instskip(NEXT) | instid1(VALU_DEP_2)
	v_add_co_u32 v22, vcc_lo, s18, v22
	v_add_co_ci_u32_e32 v23, vcc_lo, s19, v23, vcc_lo
	global_load_b64 v[22:23], v[22:23], off
	s_waitcnt vmcnt(0)
	ds_store_b64 v26, v[22:23]
.LBB4_28:                               ;   in Loop: Header=BB4_11 Depth=1
	s_or_b32 exec_lo, exec_lo, s23
	s_waitcnt lgkmcnt(0)
	s_barrier
	buffer_gl0_inv
	s_and_saveexec_b32 s23, s4
	s_cbranch_execz .LBB4_10
; %bb.29:                               ;   in Loop: Header=BB4_11 Depth=1
	s_and_saveexec_b32 s26, s20
	s_cbranch_execz .LBB4_37
; %bb.30:                               ;   in Loop: Header=BB4_11 Depth=1
	s_and_not1_b32 vcc_lo, exec_lo, s34
	s_cbranch_vccnz .LBB4_34
; %bb.31:                               ;   in Loop: Header=BB4_11 Depth=1
	v_mov_b32_e32 v9, v29
	v_mov_b32_e32 v11, v28
	s_mov_b32 s27, 0
	s_set_inst_prefetch_distance 0x1
	.p2align	6
.LBB4_32:                               ;   Parent Loop BB4_11 Depth=1
                                        ; =>  This Inner Loop Header: Depth=2
	ds_load_b128 v[22:25], v11
	ds_load_b128 v[31:34], v9
	ds_load_b128 v[35:38], v9 offset:16
	ds_load_b128 v[39:42], v11 offset:16
	s_add_i32 s27, s27, 8
	s_delay_alu instid0(SALU_CYCLE_1) | instskip(SKIP_2) | instid1(VALU_DEP_1)
	s_cmp_lg_u32 s35, s27
	s_waitcnt lgkmcnt(2)
	v_fma_f64 v[0:1], v[31:32], v[22:23], v[0:1]
	v_fma_f64 v[0:1], v[33:34], v[24:25], v[0:1]
	s_waitcnt lgkmcnt(0)
	s_delay_alu instid0(VALU_DEP_1) | instskip(NEXT) | instid1(VALU_DEP_1)
	v_fma_f64 v[0:1], v[35:36], v[39:40], v[0:1]
	v_fma_f64 v[0:1], v[37:38], v[41:42], v[0:1]
	ds_load_b128 v[22:25], v11 offset:32
	ds_load_b128 v[31:34], v9 offset:32
	;; [unrolled: 1-line block ×4, first 2 shown]
	v_add_nc_u32_e32 v11, 64, v11
	v_add_nc_u32_e32 v9, 64, v9
	s_waitcnt lgkmcnt(2)
	v_fma_f64 v[0:1], v[31:32], v[22:23], v[0:1]
	s_delay_alu instid0(VALU_DEP_1) | instskip(SKIP_1) | instid1(VALU_DEP_1)
	v_fma_f64 v[0:1], v[33:34], v[24:25], v[0:1]
	s_waitcnt lgkmcnt(0)
	v_fma_f64 v[0:1], v[35:36], v[39:40], v[0:1]
	s_delay_alu instid0(VALU_DEP_1)
	v_fma_f64 v[0:1], v[37:38], v[41:42], v[0:1]
	s_cbranch_scc1 .LBB4_32
; %bb.33:                               ;   in Loop: Header=BB4_11 Depth=1
	s_set_inst_prefetch_distance 0x2
	s_mov_b32 s27, s35
	s_and_not1_b32 vcc_lo, exec_lo, s25
	s_cbranch_vccz .LBB4_35
	s_branch .LBB4_37
.LBB4_34:                               ;   in Loop: Header=BB4_11 Depth=1
	s_mov_b32 s27, 0
	s_and_not1_b32 vcc_lo, exec_lo, s25
	s_cbranch_vccnz .LBB4_37
.LBB4_35:                               ;   in Loop: Header=BB4_11 Depth=1
	s_lshl_b32 s27, s27, 3
	s_delay_alu instid0(SALU_CYCLE_1)
	v_add_nc_u32_e32 v9, s27, v28
	v_add_nc_u32_e32 v11, s27, v29
	s_mov_b32 s27, s33
.LBB4_36:                               ;   Parent Loop BB4_11 Depth=1
                                        ; =>  This Inner Loop Header: Depth=2
	ds_load_b64 v[22:23], v11
	ds_load_b64 v[24:25], v9
	v_add_nc_u32_e32 v9, 8, v9
	v_add_nc_u32_e32 v11, 8, v11
	s_add_i32 s27, s27, -1
	s_delay_alu instid0(SALU_CYCLE_1)
	s_cmp_lg_u32 s27, 0
	s_waitcnt lgkmcnt(0)
	v_fma_f64 v[0:1], v[22:23], v[24:25], v[0:1]
	s_cbranch_scc1 .LBB4_36
.LBB4_37:                               ;   in Loop: Header=BB4_11 Depth=1
	s_or_b32 exec_lo, exec_lo, s26
	s_and_saveexec_b32 s26, s31
	s_cbranch_execz .LBB4_9
; %bb.38:                               ;   in Loop: Header=BB4_11 Depth=1
	s_and_not1_b32 vcc_lo, exec_lo, s34
	s_cbranch_vccnz .LBB4_42
; %bb.39:                               ;   in Loop: Header=BB4_11 Depth=1
	v_mov_b32_e32 v9, v29
	v_mov_b32_e32 v11, v30
	s_mov_b32 s27, 0
	s_set_inst_prefetch_distance 0x1
	.p2align	6
.LBB4_40:                               ;   Parent Loop BB4_11 Depth=1
                                        ; =>  This Inner Loop Header: Depth=2
	ds_load_b128 v[22:25], v11
	ds_load_b128 v[31:34], v9
	ds_load_b128 v[35:38], v9 offset:16
	ds_load_b128 v[39:42], v11 offset:16
	s_add_i32 s27, s27, 8
	s_delay_alu instid0(SALU_CYCLE_1) | instskip(SKIP_2) | instid1(VALU_DEP_1)
	s_cmp_lg_u32 s35, s27
	s_waitcnt lgkmcnt(2)
	v_fma_f64 v[2:3], v[31:32], v[22:23], v[2:3]
	v_fma_f64 v[2:3], v[33:34], v[24:25], v[2:3]
	s_waitcnt lgkmcnt(0)
	s_delay_alu instid0(VALU_DEP_1) | instskip(NEXT) | instid1(VALU_DEP_1)
	v_fma_f64 v[2:3], v[35:36], v[39:40], v[2:3]
	v_fma_f64 v[2:3], v[37:38], v[41:42], v[2:3]
	ds_load_b128 v[22:25], v11 offset:32
	ds_load_b128 v[31:34], v9 offset:32
	;; [unrolled: 1-line block ×4, first 2 shown]
	v_add_nc_u32_e32 v11, 64, v11
	v_add_nc_u32_e32 v9, 64, v9
	s_waitcnt lgkmcnt(2)
	v_fma_f64 v[2:3], v[31:32], v[22:23], v[2:3]
	s_delay_alu instid0(VALU_DEP_1) | instskip(SKIP_1) | instid1(VALU_DEP_1)
	v_fma_f64 v[2:3], v[33:34], v[24:25], v[2:3]
	s_waitcnt lgkmcnt(0)
	v_fma_f64 v[2:3], v[35:36], v[39:40], v[2:3]
	s_delay_alu instid0(VALU_DEP_1)
	v_fma_f64 v[2:3], v[37:38], v[41:42], v[2:3]
	s_cbranch_scc1 .LBB4_40
; %bb.41:                               ;   in Loop: Header=BB4_11 Depth=1
	s_set_inst_prefetch_distance 0x2
	s_mov_b32 s27, s35
	s_and_not1_b32 vcc_lo, exec_lo, s25
	s_cbranch_vccz .LBB4_43
	s_branch .LBB4_9
.LBB4_42:                               ;   in Loop: Header=BB4_11 Depth=1
	s_mov_b32 s27, 0
	s_and_not1_b32 vcc_lo, exec_lo, s25
	s_cbranch_vccnz .LBB4_9
.LBB4_43:                               ;   in Loop: Header=BB4_11 Depth=1
	s_lshl_b32 s27, s27, 3
	s_delay_alu instid0(SALU_CYCLE_1)
	v_add_nc_u32_e32 v9, s27, v30
	v_add_nc_u32_e32 v11, s27, v29
	s_mov_b32 s27, s33
.LBB4_44:                               ;   Parent Loop BB4_11 Depth=1
                                        ; =>  This Inner Loop Header: Depth=2
	ds_load_b64 v[22:23], v11
	ds_load_b64 v[24:25], v9
	v_add_nc_u32_e32 v9, 8, v9
	v_add_nc_u32_e32 v11, 8, v11
	s_add_i32 s27, s27, -1
	s_delay_alu instid0(SALU_CYCLE_1)
	s_cmp_lg_u32 s27, 0
	s_waitcnt lgkmcnt(0)
	v_fma_f64 v[2:3], v[22:23], v[24:25], v[2:3]
	s_cbranch_scc1 .LBB4_44
	s_branch .LBB4_9
.LBB4_45:
	s_delay_alu instid0(VALU_DEP_1) | instskip(NEXT) | instid1(SALU_CYCLE_1)
	s_and_b32 s4, s7, s4
	s_and_b32 exec_lo, exec_lo, s4
	s_cbranch_execz .LBB4_56
; %bb.46:
	v_cmp_neq_f64_e32 vcc_lo, 0, v[6:7]
	v_mad_u64_u32 v[13:14], null, s14, s12, v[12:13]
	s_load_b64 s[4:5], s[0:1], 0x58
	s_delay_alu instid0(VALU_DEP_1) | instskip(NEXT) | instid1(VALU_DEP_1)
	v_ashrrev_i32_e32 v14, 31, v13
	v_lshlrev_b64 v[11:12], 3, v[13:14]
	s_delay_alu instid0(VALU_DEP_1) | instskip(NEXT) | instid1(VALU_DEP_1)
	v_add_co_u32 v9, s0, s10, v11
	v_add_co_ci_u32_e64 v11, s0, s11, v12, s0
	s_and_saveexec_b32 s1, s3
	s_cbranch_execz .LBB4_51
; %bb.47:
	s_and_saveexec_b32 s0, vcc_lo
	s_delay_alu instid0(SALU_CYCLE_1)
	s_xor_b32 s3, exec_lo, s0
	s_cbranch_execz .LBB4_49
; %bb.48:
	v_ashrrev_i32_e32 v14, 31, v10
	s_waitcnt lgkmcnt(0)
	v_mul_lo_u32 v15, v10, s5
	v_mad_u64_u32 v[12:13], null, v10, s4, 0
	v_mul_f64 v[16:17], v[4:5], v[0:1]
	v_mul_lo_u32 v10, v14, s4
	s_delay_alu instid0(VALU_DEP_1) | instskip(NEXT) | instid1(VALU_DEP_1)
	v_add3_u32 v13, v13, v15, v10
                                        ; implicit-def: $vgpr10
	v_lshlrev_b64 v[12:13], 3, v[12:13]
	s_delay_alu instid0(VALU_DEP_1) | instskip(NEXT) | instid1(VALU_DEP_1)
	v_add_co_u32 v12, s0, v9, v12
	v_add_co_ci_u32_e64 v13, s0, v11, v13, s0
	global_load_b64 v[14:15], v[12:13], off
	s_waitcnt vmcnt(0)
	v_fma_f64 v[14:15], v[6:7], v[14:15], v[16:17]
	global_store_b64 v[12:13], v[14:15], off
.LBB4_49:
	s_and_not1_saveexec_b32 s0, s3
	s_cbranch_execz .LBB4_51
; %bb.50:
	v_mul_f64 v[0:1], v[4:5], v[0:1]
	v_ashrrev_i32_e32 v12, 31, v10
	s_waitcnt lgkmcnt(0)
	v_mul_lo_u32 v14, v10, s5
	s_delay_alu instid0(VALU_DEP_2) | instskip(SKIP_1) | instid1(VALU_DEP_1)
	v_mul_lo_u32 v15, v12, s4
	v_mad_u64_u32 v[12:13], null, v10, s4, 0
	v_add3_u32 v13, v13, v14, v15
	s_delay_alu instid0(VALU_DEP_1) | instskip(NEXT) | instid1(VALU_DEP_1)
	v_lshlrev_b64 v[12:13], 3, v[12:13]
	v_add_co_u32 v12, s0, v9, v12
	s_delay_alu instid0(VALU_DEP_1)
	v_add_co_ci_u32_e64 v13, s0, v11, v13, s0
	global_store_b64 v[12:13], v[0:1], off
.LBB4_51:
	s_or_b32 exec_lo, exec_lo, s1
	s_delay_alu instid0(SALU_CYCLE_1)
	s_and_b32 exec_lo, exec_lo, s2
	s_cbranch_execz .LBB4_56
; %bb.52:
	s_and_saveexec_b32 s0, vcc_lo
	s_delay_alu instid0(SALU_CYCLE_1)
	s_xor_b32 s0, exec_lo, s0
	s_cbranch_execz .LBB4_54
; %bb.53:
	v_ashrrev_i32_e32 v10, 31, v8
	s_waitcnt lgkmcnt(0)
	v_mul_lo_u32 v12, v8, s5
	v_mad_u64_u32 v[0:1], null, v8, s4, 0
	v_mul_f64 v[2:3], v[4:5], v[2:3]
	v_mul_lo_u32 v8, v10, s4
                                        ; implicit-def: $vgpr4_vgpr5
	s_delay_alu instid0(VALU_DEP_1) | instskip(NEXT) | instid1(VALU_DEP_1)
	v_add3_u32 v1, v1, v12, v8
	v_lshlrev_b64 v[0:1], 3, v[0:1]
	s_delay_alu instid0(VALU_DEP_1) | instskip(NEXT) | instid1(VALU_DEP_2)
	v_add_co_u32 v0, vcc_lo, v9, v0
	v_add_co_ci_u32_e32 v1, vcc_lo, v11, v1, vcc_lo
                                        ; implicit-def: $vgpr11
	global_load_b64 v[8:9], v[0:1], off
	s_waitcnt vmcnt(0)
	v_fma_f64 v[2:3], v[6:7], v[8:9], v[2:3]
                                        ; implicit-def: $vgpr8
                                        ; implicit-def: $vgpr9
	global_store_b64 v[0:1], v[2:3], off
                                        ; implicit-def: $vgpr0_vgpr1_vgpr2_vgpr3
.LBB4_54:
	s_and_not1_saveexec_b32 s0, s0
	s_cbranch_execz .LBB4_56
; %bb.55:
	v_mul_f64 v[0:1], v[4:5], v[2:3]
	v_ashrrev_i32_e32 v2, 31, v8
	s_waitcnt lgkmcnt(0)
	v_mul_lo_u32 v4, v8, s5
	s_delay_alu instid0(VALU_DEP_2) | instskip(SKIP_1) | instid1(VALU_DEP_1)
	v_mul_lo_u32 v5, v2, s4
	v_mad_u64_u32 v[2:3], null, v8, s4, 0
	v_add3_u32 v3, v3, v4, v5
	s_delay_alu instid0(VALU_DEP_1) | instskip(NEXT) | instid1(VALU_DEP_1)
	v_lshlrev_b64 v[2:3], 3, v[2:3]
	v_add_co_u32 v2, vcc_lo, v9, v2
	s_delay_alu instid0(VALU_DEP_2)
	v_add_co_ci_u32_e32 v3, vcc_lo, v11, v3, vcc_lo
	global_store_b64 v[2:3], v[0:1], off
.LBB4_56:
	s_nop 0
	s_sendmsg sendmsg(MSG_DEALLOC_VGPRS)
	s_endpgm
	.section	.rodata,"a",@progbits
	.p2align	6, 0x0
	.amdhsa_kernel _ZN9rocsparseL33gebsrmm_large_blockdim_kernel_extILi16ELi16ELi2EdEEv20rocsparse_direction_20rocsparse_operation_iiNS_24const_host_device_scalarIT2_EEPKiS7_PKS4_iiS9_lS5_PS4_l21rocsparse_index_base_b
		.amdhsa_group_segment_fixed_size 6144
		.amdhsa_private_segment_fixed_size 0
		.amdhsa_kernarg_size 104
		.amdhsa_user_sgpr_count 14
		.amdhsa_user_sgpr_dispatch_ptr 0
		.amdhsa_user_sgpr_queue_ptr 0
		.amdhsa_user_sgpr_kernarg_segment_ptr 1
		.amdhsa_user_sgpr_dispatch_id 0
		.amdhsa_user_sgpr_private_segment_size 0
		.amdhsa_wavefront_size32 1
		.amdhsa_uses_dynamic_stack 0
		.amdhsa_enable_private_segment 0
		.amdhsa_system_sgpr_workgroup_id_x 1
		.amdhsa_system_sgpr_workgroup_id_y 1
		.amdhsa_system_sgpr_workgroup_id_z 0
		.amdhsa_system_sgpr_workgroup_info 0
		.amdhsa_system_vgpr_workitem_id 1
		.amdhsa_next_free_vgpr 43
		.amdhsa_next_free_sgpr 38
		.amdhsa_reserve_vcc 1
		.amdhsa_float_round_mode_32 0
		.amdhsa_float_round_mode_16_64 0
		.amdhsa_float_denorm_mode_32 3
		.amdhsa_float_denorm_mode_16_64 3
		.amdhsa_dx10_clamp 1
		.amdhsa_ieee_mode 1
		.amdhsa_fp16_overflow 0
		.amdhsa_workgroup_processor_mode 1
		.amdhsa_memory_ordered 1
		.amdhsa_forward_progress 0
		.amdhsa_shared_vgpr_count 0
		.amdhsa_exception_fp_ieee_invalid_op 0
		.amdhsa_exception_fp_denorm_src 0
		.amdhsa_exception_fp_ieee_div_zero 0
		.amdhsa_exception_fp_ieee_overflow 0
		.amdhsa_exception_fp_ieee_underflow 0
		.amdhsa_exception_fp_ieee_inexact 0
		.amdhsa_exception_int_div_zero 0
	.end_amdhsa_kernel
	.section	.text._ZN9rocsparseL33gebsrmm_large_blockdim_kernel_extILi16ELi16ELi2EdEEv20rocsparse_direction_20rocsparse_operation_iiNS_24const_host_device_scalarIT2_EEPKiS7_PKS4_iiS9_lS5_PS4_l21rocsparse_index_base_b,"axG",@progbits,_ZN9rocsparseL33gebsrmm_large_blockdim_kernel_extILi16ELi16ELi2EdEEv20rocsparse_direction_20rocsparse_operation_iiNS_24const_host_device_scalarIT2_EEPKiS7_PKS4_iiS9_lS5_PS4_l21rocsparse_index_base_b,comdat
.Lfunc_end4:
	.size	_ZN9rocsparseL33gebsrmm_large_blockdim_kernel_extILi16ELi16ELi2EdEEv20rocsparse_direction_20rocsparse_operation_iiNS_24const_host_device_scalarIT2_EEPKiS7_PKS4_iiS9_lS5_PS4_l21rocsparse_index_base_b, .Lfunc_end4-_ZN9rocsparseL33gebsrmm_large_blockdim_kernel_extILi16ELi16ELi2EdEEv20rocsparse_direction_20rocsparse_operation_iiNS_24const_host_device_scalarIT2_EEPKiS7_PKS4_iiS9_lS5_PS4_l21rocsparse_index_base_b
                                        ; -- End function
	.section	.AMDGPU.csdata,"",@progbits
; Kernel info:
; codeLenInByte = 2384
; NumSgprs: 40
; NumVgprs: 43
; ScratchSize: 0
; MemoryBound: 0
; FloatMode: 240
; IeeeMode: 1
; LDSByteSize: 6144 bytes/workgroup (compile time only)
; SGPRBlocks: 4
; VGPRBlocks: 5
; NumSGPRsForWavesPerEU: 40
; NumVGPRsForWavesPerEU: 43
; Occupancy: 16
; WaveLimiterHint : 1
; COMPUTE_PGM_RSRC2:SCRATCH_EN: 0
; COMPUTE_PGM_RSRC2:USER_SGPR: 14
; COMPUTE_PGM_RSRC2:TRAP_HANDLER: 0
; COMPUTE_PGM_RSRC2:TGID_X_EN: 1
; COMPUTE_PGM_RSRC2:TGID_Y_EN: 1
; COMPUTE_PGM_RSRC2:TGID_Z_EN: 0
; COMPUTE_PGM_RSRC2:TIDIG_COMP_CNT: 1
	.section	.text._ZN9rocsparseL33gebsrmm_large_blockdim_kernel_extILi32ELi32ELi2EdEEv20rocsparse_direction_20rocsparse_operation_iiNS_24const_host_device_scalarIT2_EEPKiS7_PKS4_iiS9_lS5_PS4_l21rocsparse_index_base_b,"axG",@progbits,_ZN9rocsparseL33gebsrmm_large_blockdim_kernel_extILi32ELi32ELi2EdEEv20rocsparse_direction_20rocsparse_operation_iiNS_24const_host_device_scalarIT2_EEPKiS7_PKS4_iiS9_lS5_PS4_l21rocsparse_index_base_b,comdat
	.globl	_ZN9rocsparseL33gebsrmm_large_blockdim_kernel_extILi32ELi32ELi2EdEEv20rocsparse_direction_20rocsparse_operation_iiNS_24const_host_device_scalarIT2_EEPKiS7_PKS4_iiS9_lS5_PS4_l21rocsparse_index_base_b ; -- Begin function _ZN9rocsparseL33gebsrmm_large_blockdim_kernel_extILi32ELi32ELi2EdEEv20rocsparse_direction_20rocsparse_operation_iiNS_24const_host_device_scalarIT2_EEPKiS7_PKS4_iiS9_lS5_PS4_l21rocsparse_index_base_b
	.p2align	8
	.type	_ZN9rocsparseL33gebsrmm_large_blockdim_kernel_extILi32ELi32ELi2EdEEv20rocsparse_direction_20rocsparse_operation_iiNS_24const_host_device_scalarIT2_EEPKiS7_PKS4_iiS9_lS5_PS4_l21rocsparse_index_base_b,@function
_ZN9rocsparseL33gebsrmm_large_blockdim_kernel_extILi32ELi32ELi2EdEEv20rocsparse_direction_20rocsparse_operation_iiNS_24const_host_device_scalarIT2_EEPKiS7_PKS4_iiS9_lS5_PS4_l21rocsparse_index_base_b: ; @_ZN9rocsparseL33gebsrmm_large_blockdim_kernel_extILi32ELi32ELi2EdEEv20rocsparse_direction_20rocsparse_operation_iiNS_24const_host_device_scalarIT2_EEPKiS7_PKS4_iiS9_lS5_PS4_l21rocsparse_index_base_b
; %bb.0:
	s_clause 0x2
	s_load_b64 s[6:7], s[0:1], 0x60
	s_load_b64 s[2:3], s[0:1], 0x10
	s_load_b128 s[8:11], s[0:1], 0x40
	s_waitcnt lgkmcnt(0)
	s_bitcmp1_b32 s7, 0
	v_dual_mov_b32 v5, s3 :: v_dual_mov_b32 v4, s2
	s_cselect_b32 s4, -1, 0
	s_delay_alu instid0(SALU_CYCLE_1)
	s_and_b32 vcc_lo, exec_lo, s4
	s_xor_b32 s4, s4, -1
	s_cbranch_vccnz .LBB5_2
; %bb.1:
	v_dual_mov_b32 v1, s2 :: v_dual_mov_b32 v2, s3
	flat_load_b64 v[4:5], v[1:2]
.LBB5_2:
	v_dual_mov_b32 v6, s10 :: v_dual_mov_b32 v7, s11
	s_and_not1_b32 vcc_lo, exec_lo, s4
	s_cbranch_vccnz .LBB5_4
; %bb.3:
	v_dual_mov_b32 v1, s10 :: v_dual_mov_b32 v2, s11
	flat_load_b64 v[6:7], v[1:2]
.LBB5_4:
	s_waitcnt vmcnt(0) lgkmcnt(0)
	v_cmp_neq_f64_e32 vcc_lo, 0, v[4:5]
	v_cmp_neq_f64_e64 s2, 1.0, v[6:7]
	s_delay_alu instid0(VALU_DEP_1) | instskip(NEXT) | instid1(SALU_CYCLE_1)
	s_or_b32 s2, vcc_lo, s2
	s_and_saveexec_b32 s3, s2
	s_cbranch_execz .LBB5_56
; %bb.5:
	s_load_b128 s[20:23], s[0:1], 0x0
	s_mov_b32 s16, 0
	s_mov_b32 s30, 0
	s_waitcnt lgkmcnt(0)
	s_cmp_lt_i32 s14, s22
	s_cselect_b32 s7, -1, 0
	s_cmp_ge_i32 s14, s22
	s_mov_b32 s22, 0
	s_cbranch_scc1 .LBB5_7
; %bb.6:
	s_load_b64 s[4:5], s[0:1], 0x18
	s_mov_b32 s2, s15
	s_ashr_i32 s15, s14, 31
	s_delay_alu instid0(SALU_CYCLE_1)
	s_lshl_b64 s[10:11], s[14:15], 2
	s_mov_b32 s15, s2
	s_waitcnt lgkmcnt(0)
	s_add_u32 s2, s4, s10
	s_addc_u32 s3, s5, s11
	s_load_b64 s[2:3], s[2:3], 0x0
	s_waitcnt lgkmcnt(0)
	s_sub_i32 s22, s2, s6
	s_sub_i32 s30, s3, s6
.LBB5_7:
	s_clause 0x1
	s_load_b64 s[12:13], s[0:1], 0x30
	s_load_b64 s[10:11], s[0:1], 0x50
	v_bfe_u32 v14, v0, 10, 10
	s_mov_b32 s17, s16
	s_mov_b32 s18, s16
	;; [unrolled: 1-line block ×3, first 2 shown]
	v_and_b32_e32 v12, 0x3ff, v0
	v_lshl_add_u32 v10, s15, 6, v14
	v_dual_mov_b32 v0, s16 :: v_dual_mov_b32 v1, s17
	v_dual_mov_b32 v2, s18 :: v_dual_mov_b32 v3, s19
	s_delay_alu instid0(VALU_DEP_3) | instskip(SKIP_2) | instid1(VALU_DEP_2)
	v_add_nc_u32_e32 v8, 32, v10
	v_cmp_gt_i32_e64 s3, s23, v10
	s_cmp_ge_i32 s22, s30
	v_cmp_gt_i32_e64 s2, s23, v8
	s_waitcnt lgkmcnt(0)
	v_cmp_gt_i32_e64 s4, s12, v12
	s_cbranch_scc1 .LBB5_45
; %bb.8:
	v_mul_lo_u32 v15, v10, s9
	v_ashrrev_i32_e32 v11, 31, v10
	v_ashrrev_i32_e32 v9, 31, v8
	v_cmp_gt_i32_e32 vcc_lo, s13, v14
	s_clause 0x1
	s_load_b128 s[16:19], s[0:1], 0x20
	s_load_b64 s[28:29], s[0:1], 0x38
	v_mad_u64_u32 v[0:1], null, v14, s12, v[12:13]
	v_mul_lo_u32 v16, v11, s8
	v_mad_u64_u32 v[18:19], null, v10, s8, 0
	v_mul_lo_u32 v17, v8, s9
	v_mul_lo_u32 v22, v9, s8
	v_mad_u64_u32 v[20:21], null, v8, s8, 0
	v_mad_u64_u32 v[1:2], null, v12, s13, v[14:15]
	s_and_b32 s15, s4, vcc_lo
	s_cmpk_lg_i32 s21, 0x6f
	v_lshl_add_u32 v13, v12, 5, v14
	s_cselect_b32 s21, -1, 0
	s_cmp_eq_u32 s20, 0
	s_mov_b32 s24, 0
	s_cselect_b32 vcc_lo, -1, 0
	s_cmp_gt_i32 s13, 0
	v_add3_u32 v19, v19, v15, v16
	v_add3_u32 v21, v21, v17, v22
	s_mov_b32 s25, s24
	s_mov_b32 s26, s24
	;; [unrolled: 1-line block ×3, first 2 shown]
	v_lshlrev_b32_e32 v3, 5, v14
	v_lshl_add_u32 v26, v13, 3, 0x4000
	s_cselect_b32 s23, -1, 0
	v_dual_cndmask_b32 v13, v0, v1 :: v_dual_lshlrev_b32 v28, 8, v14
	s_and_b32 s20, s3, s23
	s_and_b32 s31, s2, s23
	;; [unrolled: 1-line block ×3, first 2 shown]
	s_cmp_gt_u32 s13, 7
	v_add_lshl_u32 v27, v3, v12, 3
	v_dual_mov_b32 v0, s24 :: v_dual_mov_b32 v3, s27
	v_lshlrev_b64 v[14:15], 3, v[10:11]
	v_lshlrev_b64 v[16:17], 3, v[8:9]
	;; [unrolled: 1-line block ×4, first 2 shown]
	v_cmp_gt_i32_e64 s5, s13, v12
	s_cselect_b32 s34, -1, 0
	s_and_b32 s35, s13, 0x7ffffff8
	v_lshl_add_u32 v29, v12, 8, 0x4000
	v_dual_mov_b32 v1, s25 :: v_dual_add_nc_u32 v30, 0x2000, v28
	v_mov_b32_e32 v2, s26
	s_cmp_lg_u32 s33, 0
	s_mul_i32 s24, s13, s12
	s_cselect_b32 s25, -1, 0
	s_branch .LBB5_11
.LBB5_9:                                ;   in Loop: Header=BB5_11 Depth=1
	s_or_b32 exec_lo, exec_lo, s26
.LBB5_10:                               ;   in Loop: Header=BB5_11 Depth=1
	s_delay_alu instid0(SALU_CYCLE_1) | instskip(SKIP_1) | instid1(SALU_CYCLE_1)
	s_or_b32 exec_lo, exec_lo, s23
	s_add_i32 s22, s22, 1
	s_cmp_ge_i32 s22, s30
	s_barrier
	buffer_gl0_inv
	s_cbranch_scc1 .LBB5_45
.LBB5_11:                               ; =>This Loop Header: Depth=1
                                        ;     Child Loop BB5_32 Depth 2
                                        ;     Child Loop BB5_36 Depth 2
	;; [unrolled: 1-line block ×4, first 2 shown]
	s_and_saveexec_b32 s26, s5
	s_cbranch_execz .LBB5_26
; %bb.12:                               ;   in Loop: Header=BB5_11 Depth=1
	s_ashr_i32 s23, s22, 31
	s_delay_alu instid0(SALU_CYCLE_1)
	s_lshl_b64 s[36:37], s[22:23], 2
	s_waitcnt lgkmcnt(0)
	s_add_u32 s36, s16, s36
	s_addc_u32 s37, s17, s37
	s_and_not1_b32 vcc_lo, exec_lo, s21
	s_load_b32 s23, s[36:37], 0x0
	s_waitcnt lgkmcnt(0)
	s_sub_i32 s23, s23, s6
	s_delay_alu instid0(SALU_CYCLE_1) | instskip(NEXT) | instid1(VALU_DEP_1)
	v_mad_u64_u32 v[22:23], null, s23, s13, v[12:13]
	v_ashrrev_i32_e32 v23, 31, v22
	s_cbranch_vccnz .LBB5_18
; %bb.13:                               ;   in Loop: Header=BB5_11 Depth=1
	s_delay_alu instid0(VALU_DEP_1) | instskip(SKIP_2) | instid1(VALU_DEP_1)
	v_mul_lo_u32 v9, v23, s8
	v_mul_lo_u32 v11, v22, s9
	v_mad_u64_u32 v[24:25], null, v22, s8, 0
	v_add3_u32 v25, v25, v11, v9
	s_delay_alu instid0(VALU_DEP_1) | instskip(NEXT) | instid1(VALU_DEP_1)
	v_lshlrev_b64 v[24:25], 3, v[24:25]
	v_add_co_u32 v9, vcc_lo, s28, v24
	s_delay_alu instid0(VALU_DEP_2)
	v_add_co_ci_u32_e32 v11, vcc_lo, s29, v25, vcc_lo
	s_and_saveexec_b32 s23, s3
	s_cbranch_execz .LBB5_15
; %bb.14:                               ;   in Loop: Header=BB5_11 Depth=1
	s_delay_alu instid0(VALU_DEP_2) | instskip(NEXT) | instid1(VALU_DEP_2)
	v_add_co_u32 v24, vcc_lo, v9, v14
	v_add_co_ci_u32_e32 v25, vcc_lo, v11, v15, vcc_lo
	global_load_b64 v[24:25], v[24:25], off
	s_waitcnt vmcnt(0)
	ds_store_b64 v27, v[24:25]
.LBB5_15:                               ;   in Loop: Header=BB5_11 Depth=1
	s_or_b32 exec_lo, exec_lo, s23
	s_mov_b32 s27, 0
	s_mov_b32 s23, 0
                                        ; implicit-def: $vgpr24_vgpr25
	s_and_saveexec_b32 s36, s2
	s_delay_alu instid0(SALU_CYCLE_1)
	s_xor_b32 s36, exec_lo, s36
; %bb.16:                               ;   in Loop: Header=BB5_11 Depth=1
	v_add_co_u32 v24, vcc_lo, v9, v16
	v_add_co_ci_u32_e32 v25, vcc_lo, v11, v17, vcc_lo
	s_mov_b32 s23, exec_lo
; %bb.17:                               ;   in Loop: Header=BB5_11 Depth=1
	s_or_b32 exec_lo, exec_lo, s36
	s_delay_alu instid0(SALU_CYCLE_1)
	s_and_b32 vcc_lo, exec_lo, s27
	s_cbranch_vccnz .LBB5_19
	s_branch .LBB5_24
.LBB5_18:                               ;   in Loop: Header=BB5_11 Depth=1
	s_mov_b32 s23, 0
                                        ; implicit-def: $vgpr24_vgpr25
	s_cbranch_execz .LBB5_24
.LBB5_19:                               ;   in Loop: Header=BB5_11 Depth=1
	s_delay_alu instid0(VALU_DEP_1) | instskip(NEXT) | instid1(VALU_DEP_1)
	v_lshlrev_b64 v[22:23], 3, v[22:23]
	v_add_co_u32 v9, vcc_lo, s28, v22
	s_delay_alu instid0(VALU_DEP_2)
	v_add_co_ci_u32_e32 v11, vcc_lo, s29, v23, vcc_lo
	s_and_saveexec_b32 s27, s3
	s_cbranch_execz .LBB5_21
; %bb.20:                               ;   in Loop: Header=BB5_11 Depth=1
	s_delay_alu instid0(VALU_DEP_2) | instskip(NEXT) | instid1(VALU_DEP_2)
	v_add_co_u32 v22, vcc_lo, v9, v18
	v_add_co_ci_u32_e32 v23, vcc_lo, v11, v19, vcc_lo
	global_load_b64 v[22:23], v[22:23], off
	s_waitcnt vmcnt(0)
	ds_store_b64 v27, v[22:23]
.LBB5_21:                               ;   in Loop: Header=BB5_11 Depth=1
	s_or_b32 exec_lo, exec_lo, s27
                                        ; implicit-def: $vgpr24_vgpr25
	s_and_saveexec_b32 s27, s2
; %bb.22:                               ;   in Loop: Header=BB5_11 Depth=1
	v_add_co_u32 v24, vcc_lo, v9, v20
	v_add_co_ci_u32_e32 v25, vcc_lo, v11, v21, vcc_lo
	s_or_b32 s23, s23, exec_lo
; %bb.23:                               ;   in Loop: Header=BB5_11 Depth=1
	s_or_b32 exec_lo, exec_lo, s27
.LBB5_24:                               ;   in Loop: Header=BB5_11 Depth=1
	s_delay_alu instid0(SALU_CYCLE_1)
	s_and_b32 exec_lo, exec_lo, s23
	s_cbranch_execz .LBB5_26
; %bb.25:                               ;   in Loop: Header=BB5_11 Depth=1
	global_load_b64 v[22:23], v[24:25], off
	s_waitcnt vmcnt(0)
	ds_store_b64 v27, v[22:23] offset:8192
.LBB5_26:                               ;   in Loop: Header=BB5_11 Depth=1
	s_or_b32 exec_lo, exec_lo, s26
	s_and_saveexec_b32 s23, s15
	s_cbranch_execz .LBB5_28
; %bb.27:                               ;   in Loop: Header=BB5_11 Depth=1
	v_mad_u64_u32 v[22:23], null, s24, s22, v[13:14]
	s_delay_alu instid0(VALU_DEP_1) | instskip(NEXT) | instid1(VALU_DEP_1)
	v_ashrrev_i32_e32 v23, 31, v22
	v_lshlrev_b64 v[22:23], 3, v[22:23]
	s_waitcnt lgkmcnt(0)
	s_delay_alu instid0(VALU_DEP_1) | instskip(NEXT) | instid1(VALU_DEP_2)
	v_add_co_u32 v22, vcc_lo, s18, v22
	v_add_co_ci_u32_e32 v23, vcc_lo, s19, v23, vcc_lo
	global_load_b64 v[22:23], v[22:23], off
	s_waitcnt vmcnt(0)
	ds_store_b64 v26, v[22:23]
.LBB5_28:                               ;   in Loop: Header=BB5_11 Depth=1
	s_or_b32 exec_lo, exec_lo, s23
	s_waitcnt lgkmcnt(0)
	s_barrier
	buffer_gl0_inv
	s_and_saveexec_b32 s23, s4
	s_cbranch_execz .LBB5_10
; %bb.29:                               ;   in Loop: Header=BB5_11 Depth=1
	s_and_saveexec_b32 s26, s20
	s_cbranch_execz .LBB5_37
; %bb.30:                               ;   in Loop: Header=BB5_11 Depth=1
	s_and_not1_b32 vcc_lo, exec_lo, s34
	s_cbranch_vccnz .LBB5_34
; %bb.31:                               ;   in Loop: Header=BB5_11 Depth=1
	v_mov_b32_e32 v9, v29
	v_mov_b32_e32 v11, v28
	s_mov_b32 s27, 0
	s_set_inst_prefetch_distance 0x1
	.p2align	6
.LBB5_32:                               ;   Parent Loop BB5_11 Depth=1
                                        ; =>  This Inner Loop Header: Depth=2
	ds_load_b128 v[22:25], v11
	ds_load_b128 v[31:34], v9
	ds_load_b128 v[35:38], v9 offset:16
	ds_load_b128 v[39:42], v11 offset:16
	s_add_i32 s27, s27, 8
	s_delay_alu instid0(SALU_CYCLE_1) | instskip(SKIP_2) | instid1(VALU_DEP_1)
	s_cmp_lg_u32 s35, s27
	s_waitcnt lgkmcnt(2)
	v_fma_f64 v[0:1], v[31:32], v[22:23], v[0:1]
	v_fma_f64 v[0:1], v[33:34], v[24:25], v[0:1]
	s_waitcnt lgkmcnt(0)
	s_delay_alu instid0(VALU_DEP_1) | instskip(NEXT) | instid1(VALU_DEP_1)
	v_fma_f64 v[0:1], v[35:36], v[39:40], v[0:1]
	v_fma_f64 v[0:1], v[37:38], v[41:42], v[0:1]
	ds_load_b128 v[22:25], v11 offset:32
	ds_load_b128 v[31:34], v9 offset:32
	;; [unrolled: 1-line block ×4, first 2 shown]
	v_add_nc_u32_e32 v11, 64, v11
	v_add_nc_u32_e32 v9, 64, v9
	s_waitcnt lgkmcnt(2)
	v_fma_f64 v[0:1], v[31:32], v[22:23], v[0:1]
	s_delay_alu instid0(VALU_DEP_1) | instskip(SKIP_1) | instid1(VALU_DEP_1)
	v_fma_f64 v[0:1], v[33:34], v[24:25], v[0:1]
	s_waitcnt lgkmcnt(0)
	v_fma_f64 v[0:1], v[35:36], v[39:40], v[0:1]
	s_delay_alu instid0(VALU_DEP_1)
	v_fma_f64 v[0:1], v[37:38], v[41:42], v[0:1]
	s_cbranch_scc1 .LBB5_32
; %bb.33:                               ;   in Loop: Header=BB5_11 Depth=1
	s_set_inst_prefetch_distance 0x2
	s_mov_b32 s27, s35
	s_and_not1_b32 vcc_lo, exec_lo, s25
	s_cbranch_vccz .LBB5_35
	s_branch .LBB5_37
.LBB5_34:                               ;   in Loop: Header=BB5_11 Depth=1
	s_mov_b32 s27, 0
	s_and_not1_b32 vcc_lo, exec_lo, s25
	s_cbranch_vccnz .LBB5_37
.LBB5_35:                               ;   in Loop: Header=BB5_11 Depth=1
	s_lshl_b32 s27, s27, 3
	s_delay_alu instid0(SALU_CYCLE_1)
	v_add_nc_u32_e32 v9, s27, v28
	v_add_nc_u32_e32 v11, s27, v29
	s_mov_b32 s27, s33
.LBB5_36:                               ;   Parent Loop BB5_11 Depth=1
                                        ; =>  This Inner Loop Header: Depth=2
	ds_load_b64 v[22:23], v11
	ds_load_b64 v[24:25], v9
	v_add_nc_u32_e32 v9, 8, v9
	v_add_nc_u32_e32 v11, 8, v11
	s_add_i32 s27, s27, -1
	s_delay_alu instid0(SALU_CYCLE_1)
	s_cmp_lg_u32 s27, 0
	s_waitcnt lgkmcnt(0)
	v_fma_f64 v[0:1], v[22:23], v[24:25], v[0:1]
	s_cbranch_scc1 .LBB5_36
.LBB5_37:                               ;   in Loop: Header=BB5_11 Depth=1
	s_or_b32 exec_lo, exec_lo, s26
	s_and_saveexec_b32 s26, s31
	s_cbranch_execz .LBB5_9
; %bb.38:                               ;   in Loop: Header=BB5_11 Depth=1
	s_and_not1_b32 vcc_lo, exec_lo, s34
	s_cbranch_vccnz .LBB5_42
; %bb.39:                               ;   in Loop: Header=BB5_11 Depth=1
	v_mov_b32_e32 v9, v29
	v_mov_b32_e32 v11, v30
	s_mov_b32 s27, 0
	s_set_inst_prefetch_distance 0x1
	.p2align	6
.LBB5_40:                               ;   Parent Loop BB5_11 Depth=1
                                        ; =>  This Inner Loop Header: Depth=2
	ds_load_b128 v[22:25], v11
	ds_load_b128 v[31:34], v9
	ds_load_b128 v[35:38], v9 offset:16
	ds_load_b128 v[39:42], v11 offset:16
	s_add_i32 s27, s27, 8
	s_delay_alu instid0(SALU_CYCLE_1) | instskip(SKIP_2) | instid1(VALU_DEP_1)
	s_cmp_lg_u32 s35, s27
	s_waitcnt lgkmcnt(2)
	v_fma_f64 v[2:3], v[31:32], v[22:23], v[2:3]
	v_fma_f64 v[2:3], v[33:34], v[24:25], v[2:3]
	s_waitcnt lgkmcnt(0)
	s_delay_alu instid0(VALU_DEP_1) | instskip(NEXT) | instid1(VALU_DEP_1)
	v_fma_f64 v[2:3], v[35:36], v[39:40], v[2:3]
	v_fma_f64 v[2:3], v[37:38], v[41:42], v[2:3]
	ds_load_b128 v[22:25], v11 offset:32
	ds_load_b128 v[31:34], v9 offset:32
	;; [unrolled: 1-line block ×4, first 2 shown]
	v_add_nc_u32_e32 v11, 64, v11
	v_add_nc_u32_e32 v9, 64, v9
	s_waitcnt lgkmcnt(2)
	v_fma_f64 v[2:3], v[31:32], v[22:23], v[2:3]
	s_delay_alu instid0(VALU_DEP_1) | instskip(SKIP_1) | instid1(VALU_DEP_1)
	v_fma_f64 v[2:3], v[33:34], v[24:25], v[2:3]
	s_waitcnt lgkmcnt(0)
	v_fma_f64 v[2:3], v[35:36], v[39:40], v[2:3]
	s_delay_alu instid0(VALU_DEP_1)
	v_fma_f64 v[2:3], v[37:38], v[41:42], v[2:3]
	s_cbranch_scc1 .LBB5_40
; %bb.41:                               ;   in Loop: Header=BB5_11 Depth=1
	s_set_inst_prefetch_distance 0x2
	s_mov_b32 s27, s35
	s_and_not1_b32 vcc_lo, exec_lo, s25
	s_cbranch_vccz .LBB5_43
	s_branch .LBB5_9
.LBB5_42:                               ;   in Loop: Header=BB5_11 Depth=1
	s_mov_b32 s27, 0
	s_and_not1_b32 vcc_lo, exec_lo, s25
	s_cbranch_vccnz .LBB5_9
.LBB5_43:                               ;   in Loop: Header=BB5_11 Depth=1
	s_lshl_b32 s27, s27, 3
	s_delay_alu instid0(SALU_CYCLE_1)
	v_add_nc_u32_e32 v9, s27, v30
	v_add_nc_u32_e32 v11, s27, v29
	s_mov_b32 s27, s33
.LBB5_44:                               ;   Parent Loop BB5_11 Depth=1
                                        ; =>  This Inner Loop Header: Depth=2
	ds_load_b64 v[22:23], v11
	ds_load_b64 v[24:25], v9
	v_add_nc_u32_e32 v9, 8, v9
	v_add_nc_u32_e32 v11, 8, v11
	s_add_i32 s27, s27, -1
	s_delay_alu instid0(SALU_CYCLE_1)
	s_cmp_lg_u32 s27, 0
	s_waitcnt lgkmcnt(0)
	v_fma_f64 v[2:3], v[22:23], v[24:25], v[2:3]
	s_cbranch_scc1 .LBB5_44
	s_branch .LBB5_9
.LBB5_45:
	s_delay_alu instid0(VALU_DEP_1) | instskip(NEXT) | instid1(SALU_CYCLE_1)
	s_and_b32 s4, s7, s4
	s_and_b32 exec_lo, exec_lo, s4
	s_cbranch_execz .LBB5_56
; %bb.46:
	v_cmp_neq_f64_e32 vcc_lo, 0, v[6:7]
	v_mad_u64_u32 v[13:14], null, s14, s12, v[12:13]
	s_load_b64 s[4:5], s[0:1], 0x58
	s_delay_alu instid0(VALU_DEP_1) | instskip(NEXT) | instid1(VALU_DEP_1)
	v_ashrrev_i32_e32 v14, 31, v13
	v_lshlrev_b64 v[11:12], 3, v[13:14]
	s_delay_alu instid0(VALU_DEP_1) | instskip(NEXT) | instid1(VALU_DEP_1)
	v_add_co_u32 v9, s0, s10, v11
	v_add_co_ci_u32_e64 v11, s0, s11, v12, s0
	s_and_saveexec_b32 s1, s3
	s_cbranch_execz .LBB5_51
; %bb.47:
	s_and_saveexec_b32 s0, vcc_lo
	s_delay_alu instid0(SALU_CYCLE_1)
	s_xor_b32 s3, exec_lo, s0
	s_cbranch_execz .LBB5_49
; %bb.48:
	v_ashrrev_i32_e32 v14, 31, v10
	s_waitcnt lgkmcnt(0)
	v_mul_lo_u32 v15, v10, s5
	v_mad_u64_u32 v[12:13], null, v10, s4, 0
	v_mul_f64 v[16:17], v[4:5], v[0:1]
	v_mul_lo_u32 v10, v14, s4
	s_delay_alu instid0(VALU_DEP_1) | instskip(NEXT) | instid1(VALU_DEP_1)
	v_add3_u32 v13, v13, v15, v10
                                        ; implicit-def: $vgpr10
	v_lshlrev_b64 v[12:13], 3, v[12:13]
	s_delay_alu instid0(VALU_DEP_1) | instskip(NEXT) | instid1(VALU_DEP_1)
	v_add_co_u32 v12, s0, v9, v12
	v_add_co_ci_u32_e64 v13, s0, v11, v13, s0
	global_load_b64 v[14:15], v[12:13], off
	s_waitcnt vmcnt(0)
	v_fma_f64 v[14:15], v[6:7], v[14:15], v[16:17]
	global_store_b64 v[12:13], v[14:15], off
.LBB5_49:
	s_and_not1_saveexec_b32 s0, s3
	s_cbranch_execz .LBB5_51
; %bb.50:
	v_mul_f64 v[0:1], v[4:5], v[0:1]
	v_ashrrev_i32_e32 v12, 31, v10
	s_waitcnt lgkmcnt(0)
	v_mul_lo_u32 v14, v10, s5
	s_delay_alu instid0(VALU_DEP_2) | instskip(SKIP_1) | instid1(VALU_DEP_1)
	v_mul_lo_u32 v15, v12, s4
	v_mad_u64_u32 v[12:13], null, v10, s4, 0
	v_add3_u32 v13, v13, v14, v15
	s_delay_alu instid0(VALU_DEP_1) | instskip(NEXT) | instid1(VALU_DEP_1)
	v_lshlrev_b64 v[12:13], 3, v[12:13]
	v_add_co_u32 v12, s0, v9, v12
	s_delay_alu instid0(VALU_DEP_1)
	v_add_co_ci_u32_e64 v13, s0, v11, v13, s0
	global_store_b64 v[12:13], v[0:1], off
.LBB5_51:
	s_or_b32 exec_lo, exec_lo, s1
	s_delay_alu instid0(SALU_CYCLE_1)
	s_and_b32 exec_lo, exec_lo, s2
	s_cbranch_execz .LBB5_56
; %bb.52:
	s_and_saveexec_b32 s0, vcc_lo
	s_delay_alu instid0(SALU_CYCLE_1)
	s_xor_b32 s0, exec_lo, s0
	s_cbranch_execz .LBB5_54
; %bb.53:
	v_ashrrev_i32_e32 v10, 31, v8
	s_waitcnt lgkmcnt(0)
	v_mul_lo_u32 v12, v8, s5
	v_mad_u64_u32 v[0:1], null, v8, s4, 0
	v_mul_f64 v[2:3], v[4:5], v[2:3]
	v_mul_lo_u32 v8, v10, s4
                                        ; implicit-def: $vgpr4_vgpr5
	s_delay_alu instid0(VALU_DEP_1) | instskip(NEXT) | instid1(VALU_DEP_1)
	v_add3_u32 v1, v1, v12, v8
	v_lshlrev_b64 v[0:1], 3, v[0:1]
	s_delay_alu instid0(VALU_DEP_1) | instskip(NEXT) | instid1(VALU_DEP_2)
	v_add_co_u32 v0, vcc_lo, v9, v0
	v_add_co_ci_u32_e32 v1, vcc_lo, v11, v1, vcc_lo
                                        ; implicit-def: $vgpr11
	global_load_b64 v[8:9], v[0:1], off
	s_waitcnt vmcnt(0)
	v_fma_f64 v[2:3], v[6:7], v[8:9], v[2:3]
                                        ; implicit-def: $vgpr8
                                        ; implicit-def: $vgpr9
	global_store_b64 v[0:1], v[2:3], off
                                        ; implicit-def: $vgpr0_vgpr1_vgpr2_vgpr3
.LBB5_54:
	s_and_not1_saveexec_b32 s0, s0
	s_cbranch_execz .LBB5_56
; %bb.55:
	v_mul_f64 v[0:1], v[4:5], v[2:3]
	v_ashrrev_i32_e32 v2, 31, v8
	s_waitcnt lgkmcnt(0)
	v_mul_lo_u32 v4, v8, s5
	s_delay_alu instid0(VALU_DEP_2) | instskip(SKIP_1) | instid1(VALU_DEP_1)
	v_mul_lo_u32 v5, v2, s4
	v_mad_u64_u32 v[2:3], null, v8, s4, 0
	v_add3_u32 v3, v3, v4, v5
	s_delay_alu instid0(VALU_DEP_1) | instskip(NEXT) | instid1(VALU_DEP_1)
	v_lshlrev_b64 v[2:3], 3, v[2:3]
	v_add_co_u32 v2, vcc_lo, v9, v2
	s_delay_alu instid0(VALU_DEP_2)
	v_add_co_ci_u32_e32 v3, vcc_lo, v11, v3, vcc_lo
	global_store_b64 v[2:3], v[0:1], off
.LBB5_56:
	s_nop 0
	s_sendmsg sendmsg(MSG_DEALLOC_VGPRS)
	s_endpgm
	.section	.rodata,"a",@progbits
	.p2align	6, 0x0
	.amdhsa_kernel _ZN9rocsparseL33gebsrmm_large_blockdim_kernel_extILi32ELi32ELi2EdEEv20rocsparse_direction_20rocsparse_operation_iiNS_24const_host_device_scalarIT2_EEPKiS7_PKS4_iiS9_lS5_PS4_l21rocsparse_index_base_b
		.amdhsa_group_segment_fixed_size 24576
		.amdhsa_private_segment_fixed_size 0
		.amdhsa_kernarg_size 104
		.amdhsa_user_sgpr_count 14
		.amdhsa_user_sgpr_dispatch_ptr 0
		.amdhsa_user_sgpr_queue_ptr 0
		.amdhsa_user_sgpr_kernarg_segment_ptr 1
		.amdhsa_user_sgpr_dispatch_id 0
		.amdhsa_user_sgpr_private_segment_size 0
		.amdhsa_wavefront_size32 1
		.amdhsa_uses_dynamic_stack 0
		.amdhsa_enable_private_segment 0
		.amdhsa_system_sgpr_workgroup_id_x 1
		.amdhsa_system_sgpr_workgroup_id_y 1
		.amdhsa_system_sgpr_workgroup_id_z 0
		.amdhsa_system_sgpr_workgroup_info 0
		.amdhsa_system_vgpr_workitem_id 1
		.amdhsa_next_free_vgpr 43
		.amdhsa_next_free_sgpr 38
		.amdhsa_reserve_vcc 1
		.amdhsa_float_round_mode_32 0
		.amdhsa_float_round_mode_16_64 0
		.amdhsa_float_denorm_mode_32 3
		.amdhsa_float_denorm_mode_16_64 3
		.amdhsa_dx10_clamp 1
		.amdhsa_ieee_mode 1
		.amdhsa_fp16_overflow 0
		.amdhsa_workgroup_processor_mode 1
		.amdhsa_memory_ordered 1
		.amdhsa_forward_progress 0
		.amdhsa_shared_vgpr_count 0
		.amdhsa_exception_fp_ieee_invalid_op 0
		.amdhsa_exception_fp_denorm_src 0
		.amdhsa_exception_fp_ieee_div_zero 0
		.amdhsa_exception_fp_ieee_overflow 0
		.amdhsa_exception_fp_ieee_underflow 0
		.amdhsa_exception_fp_ieee_inexact 0
		.amdhsa_exception_int_div_zero 0
	.end_amdhsa_kernel
	.section	.text._ZN9rocsparseL33gebsrmm_large_blockdim_kernel_extILi32ELi32ELi2EdEEv20rocsparse_direction_20rocsparse_operation_iiNS_24const_host_device_scalarIT2_EEPKiS7_PKS4_iiS9_lS5_PS4_l21rocsparse_index_base_b,"axG",@progbits,_ZN9rocsparseL33gebsrmm_large_blockdim_kernel_extILi32ELi32ELi2EdEEv20rocsparse_direction_20rocsparse_operation_iiNS_24const_host_device_scalarIT2_EEPKiS7_PKS4_iiS9_lS5_PS4_l21rocsparse_index_base_b,comdat
.Lfunc_end5:
	.size	_ZN9rocsparseL33gebsrmm_large_blockdim_kernel_extILi32ELi32ELi2EdEEv20rocsparse_direction_20rocsparse_operation_iiNS_24const_host_device_scalarIT2_EEPKiS7_PKS4_iiS9_lS5_PS4_l21rocsparse_index_base_b, .Lfunc_end5-_ZN9rocsparseL33gebsrmm_large_blockdim_kernel_extILi32ELi32ELi2EdEEv20rocsparse_direction_20rocsparse_operation_iiNS_24const_host_device_scalarIT2_EEPKiS7_PKS4_iiS9_lS5_PS4_l21rocsparse_index_base_b
                                        ; -- End function
	.section	.AMDGPU.csdata,"",@progbits
; Kernel info:
; codeLenInByte = 2384
; NumSgprs: 40
; NumVgprs: 43
; ScratchSize: 0
; MemoryBound: 0
; FloatMode: 240
; IeeeMode: 1
; LDSByteSize: 24576 bytes/workgroup (compile time only)
; SGPRBlocks: 4
; VGPRBlocks: 5
; NumSGPRsForWavesPerEU: 40
; NumVGPRsForWavesPerEU: 43
; Occupancy: 16
; WaveLimiterHint : 1
; COMPUTE_PGM_RSRC2:SCRATCH_EN: 0
; COMPUTE_PGM_RSRC2:USER_SGPR: 14
; COMPUTE_PGM_RSRC2:TRAP_HANDLER: 0
; COMPUTE_PGM_RSRC2:TGID_X_EN: 1
; COMPUTE_PGM_RSRC2:TGID_Y_EN: 1
; COMPUTE_PGM_RSRC2:TGID_Z_EN: 0
; COMPUTE_PGM_RSRC2:TIDIG_COMP_CNT: 1
	.section	.text._ZN9rocsparseL33gebsrmm_large_blockdim_kernel_extILi8ELi8ELi2E21rocsparse_complex_numIfEEEv20rocsparse_direction_20rocsparse_operation_iiNS_24const_host_device_scalarIT2_EEPKiS9_PKS6_iiSB_lS7_PS6_l21rocsparse_index_base_b,"axG",@progbits,_ZN9rocsparseL33gebsrmm_large_blockdim_kernel_extILi8ELi8ELi2E21rocsparse_complex_numIfEEEv20rocsparse_direction_20rocsparse_operation_iiNS_24const_host_device_scalarIT2_EEPKiS9_PKS6_iiSB_lS7_PS6_l21rocsparse_index_base_b,comdat
	.globl	_ZN9rocsparseL33gebsrmm_large_blockdim_kernel_extILi8ELi8ELi2E21rocsparse_complex_numIfEEEv20rocsparse_direction_20rocsparse_operation_iiNS_24const_host_device_scalarIT2_EEPKiS9_PKS6_iiSB_lS7_PS6_l21rocsparse_index_base_b ; -- Begin function _ZN9rocsparseL33gebsrmm_large_blockdim_kernel_extILi8ELi8ELi2E21rocsparse_complex_numIfEEEv20rocsparse_direction_20rocsparse_operation_iiNS_24const_host_device_scalarIT2_EEPKiS9_PKS6_iiSB_lS7_PS6_l21rocsparse_index_base_b
	.p2align	8
	.type	_ZN9rocsparseL33gebsrmm_large_blockdim_kernel_extILi8ELi8ELi2E21rocsparse_complex_numIfEEEv20rocsparse_direction_20rocsparse_operation_iiNS_24const_host_device_scalarIT2_EEPKiS9_PKS6_iiSB_lS7_PS6_l21rocsparse_index_base_b,@function
_ZN9rocsparseL33gebsrmm_large_blockdim_kernel_extILi8ELi8ELi2E21rocsparse_complex_numIfEEEv20rocsparse_direction_20rocsparse_operation_iiNS_24const_host_device_scalarIT2_EEPKiS9_PKS6_iiSB_lS7_PS6_l21rocsparse_index_base_b: ; @_ZN9rocsparseL33gebsrmm_large_blockdim_kernel_extILi8ELi8ELi2E21rocsparse_complex_numIfEEEv20rocsparse_direction_20rocsparse_operation_iiNS_24const_host_device_scalarIT2_EEPKiS9_PKS6_iiSB_lS7_PS6_l21rocsparse_index_base_b
; %bb.0:
	s_clause 0x1
	s_load_b64 s[6:7], s[0:1], 0x60
	s_load_b64 s[2:3], s[0:1], 0x10
	s_waitcnt lgkmcnt(0)
	s_bitcmp1_b32 s7, 0
	v_mov_b32_e32 v18, s2
	s_cselect_b32 s4, -1, 0
	s_delay_alu instid0(SALU_CYCLE_1)
	s_and_b32 vcc_lo, exec_lo, s4
	s_xor_b32 s4, s4, -1
	s_cbranch_vccnz .LBB6_2
; %bb.1:
	v_dual_mov_b32 v1, s2 :: v_dual_mov_b32 v2, s3
	flat_load_b32 v18, v[1:2]
.LBB6_2:
	s_load_b128 s[8:11], s[0:1], 0x40
	v_cndmask_b32_e64 v1, 0, 1, s4
	v_mov_b32_e32 v19, s3
	s_and_not1_b32 vcc_lo, exec_lo, s4
	s_cbranch_vccz .LBB6_49
; %bb.3:
	s_delay_alu instid0(VALU_DEP_2)
	v_cmp_ne_u32_e32 vcc_lo, 1, v1
	s_waitcnt lgkmcnt(0)
	v_mov_b32_e32 v20, s10
	s_cbranch_vccz .LBB6_50
.LBB6_4:
	v_cmp_ne_u32_e32 vcc_lo, 1, v1
	v_mov_b32_e32 v21, s11
	s_cbranch_vccnz .LBB6_6
.LBB6_5:
	v_dual_mov_b32 v1, s10 :: v_dual_mov_b32 v2, s11
	flat_load_b32 v21, v[1:2] offset:4
.LBB6_6:
	s_waitcnt vmcnt(0)
	v_cmp_eq_f32_e32 vcc_lo, 0, v18
	v_cmp_eq_f32_e64 s2, 0, v19
	s_delay_alu instid0(VALU_DEP_1)
	s_and_b32 s4, vcc_lo, s2
	s_mov_b32 s2, -1
	s_and_saveexec_b32 s3, s4
	s_cbranch_execz .LBB6_8
; %bb.7:
	s_waitcnt lgkmcnt(0)
	v_cmp_neq_f32_e32 vcc_lo, 1.0, v20
	v_cmp_neq_f32_e64 s2, 0, v21
	s_delay_alu instid0(VALU_DEP_1) | instskip(NEXT) | instid1(SALU_CYCLE_1)
	s_or_b32 s2, vcc_lo, s2
	s_or_not1_b32 s2, s2, exec_lo
.LBB6_8:
	s_or_b32 exec_lo, exec_lo, s3
	s_and_saveexec_b32 s3, s2
	s_cbranch_execz .LBB6_62
; %bb.9:
	s_load_b128 s[20:23], s[0:1], 0x0
	s_mov_b32 s26, 0
	s_waitcnt lgkmcnt(0)
	s_cmp_lt_i32 s14, s22
	s_cselect_b32 s7, -1, 0
	s_cmp_ge_i32 s14, s22
	s_mov_b32 s22, 0
	s_cbranch_scc1 .LBB6_11
; %bb.10:
	s_load_b64 s[4:5], s[0:1], 0x18
	s_mov_b32 s2, s15
	s_ashr_i32 s15, s14, 31
	s_delay_alu instid0(SALU_CYCLE_1)
	s_lshl_b64 s[10:11], s[14:15], 2
	s_mov_b32 s15, s2
	s_waitcnt lgkmcnt(0)
	s_add_u32 s2, s4, s10
	s_addc_u32 s3, s5, s11
	s_load_b64 s[2:3], s[2:3], 0x0
	s_waitcnt lgkmcnt(0)
	s_sub_i32 s22, s2, s6
	s_sub_i32 s26, s3, s6
.LBB6_11:
	s_clause 0x1
	s_load_b64 s[12:13], s[0:1], 0x30
	s_load_b64 s[10:11], s[0:1], 0x50
	v_bfe_u32 v5, v0, 10, 10
	v_dual_mov_b32 v1, 0 :: v_dual_and_b32 v4, 0x3ff, v0
	v_dual_mov_b32 v22, 0 :: v_dual_mov_b32 v23, 0
	s_delay_alu instid0(VALU_DEP_3) | instskip(SKIP_1) | instid1(VALU_DEP_1)
	v_lshl_add_u32 v2, s15, 4, v5
	s_cmp_ge_i32 s22, s26
	v_dual_mov_b32 v3, 0 :: v_dual_add_nc_u32 v0, 8, v2
	v_cmp_gt_i32_e64 s3, s23, v2
	s_delay_alu instid0(VALU_DEP_2)
	v_cmp_gt_i32_e64 s2, s23, v0
	s_waitcnt lgkmcnt(0)
	v_cmp_gt_i32_e64 s4, s12, v4
	s_cbranch_scc1 .LBB6_51
; %bb.12:
	v_ashrrev_i32_e32 v3, 31, v2
	v_ashrrev_i32_e32 v1, 31, v0
	v_cmp_gt_i32_e32 vcc_lo, s13, v5
	v_mad_u64_u32 v[6:7], null, v5, s12, v[4:5]
	s_clause 0x1
	s_load_b128 s[16:19], s[0:1], 0x20
	s_load_b64 s[24:25], s[0:1], 0x38
	v_mul_lo_u32 v15, v2, s9
	v_mul_lo_u32 v16, v3, s8
	v_mad_u64_u32 v[10:11], null, v2, s8, 0
	v_mul_lo_u32 v17, v0, s9
	v_mul_lo_u32 v22, v1, s8
	v_mad_u64_u32 v[12:13], null, v0, s8, 0
	s_and_b32 s15, s4, vcc_lo
	s_cmpk_lg_i32 s21, 0x6f
	v_mad_u64_u32 v[7:8], null, v4, s13, v[5:6]
	s_cselect_b32 s21, -1, 0
	s_cmp_eq_u32 s20, 0
	v_lshlrev_b32_e32 v9, 3, v5
	s_cselect_b32 vcc_lo, -1, 0
	s_cmp_gt_i32 s13, 0
	v_add3_u32 v11, v11, v15, v16
	v_add3_u32 v13, v13, v17, v22
	v_mov_b32_e32 v22, 0
	v_lshl_add_u32 v14, v4, 3, v5
	s_cselect_b32 s23, -1, 0
	v_dual_cndmask_b32 v5, v6, v7 :: v_dual_lshlrev_b32 v26, 6, v5
	s_and_b32 s20, s3, s23
	s_and_b32 s27, s2, s23
	s_and_b32 s28, s13, 7
	s_cmp_gt_u32 s13, 7
	v_add_lshl_u32 v25, v9, v4, 3
	v_lshlrev_b64 v[6:7], 3, v[2:3]
	v_lshlrev_b64 v[8:9], 3, v[0:1]
	;; [unrolled: 1-line block ×4, first 2 shown]
	v_cmp_gt_i32_e64 s5, s13, v4
	v_lshl_add_u32 v24, v14, 3, 0x400
	s_cselect_b32 s29, -1, 0
	s_and_b32 s30, s13, 0x7ffffff8
	v_lshl_add_u32 v27, v4, 6, 0x400
	v_dual_mov_b32 v23, 0 :: v_dual_add_nc_u32 v28, 0x200, v26
	v_mov_b32_e32 v3, 0
	v_mov_b32_e32 v1, 0
	s_cmp_lg_u32 s28, 0
	s_mul_i32 s31, s13, s12
	s_cselect_b32 s33, -1, 0
	s_branch .LBB6_15
.LBB6_13:                               ;   in Loop: Header=BB6_15 Depth=1
	s_or_b32 exec_lo, exec_lo, s34
.LBB6_14:                               ;   in Loop: Header=BB6_15 Depth=1
	s_delay_alu instid0(SALU_CYCLE_1) | instskip(SKIP_1) | instid1(SALU_CYCLE_1)
	s_or_b32 exec_lo, exec_lo, s23
	s_add_i32 s22, s22, 1
	s_cmp_ge_i32 s22, s26
	s_barrier
	buffer_gl0_inv
	s_cbranch_scc1 .LBB6_51
.LBB6_15:                               ; =>This Loop Header: Depth=1
                                        ;     Child Loop BB6_36 Depth 2
                                        ;     Child Loop BB6_40 Depth 2
	;; [unrolled: 1-line block ×4, first 2 shown]
	s_and_saveexec_b32 s34, s5
	s_cbranch_execz .LBB6_30
; %bb.16:                               ;   in Loop: Header=BB6_15 Depth=1
	s_ashr_i32 s23, s22, 31
	s_delay_alu instid0(SALU_CYCLE_1)
	s_lshl_b64 s[36:37], s[22:23], 2
	s_waitcnt lgkmcnt(0)
	s_add_u32 s36, s16, s36
	s_addc_u32 s37, s17, s37
	s_and_not1_b32 vcc_lo, exec_lo, s21
	s_load_b32 s23, s[36:37], 0x0
	s_waitcnt lgkmcnt(0)
	s_sub_i32 s23, s23, s6
	s_delay_alu instid0(SALU_CYCLE_1) | instskip(NEXT) | instid1(VALU_DEP_1)
	v_mad_u64_u32 v[14:15], null, s23, s13, v[4:5]
	v_ashrrev_i32_e32 v15, 31, v14
	s_cbranch_vccnz .LBB6_22
; %bb.17:                               ;   in Loop: Header=BB6_15 Depth=1
	s_delay_alu instid0(VALU_DEP_1) | instskip(SKIP_2) | instid1(VALU_DEP_1)
	v_mul_lo_u32 v29, v15, s8
	v_mul_lo_u32 v30, v14, s9
	v_mad_u64_u32 v[16:17], null, v14, s8, 0
	v_add3_u32 v17, v17, v30, v29
	s_delay_alu instid0(VALU_DEP_1) | instskip(NEXT) | instid1(VALU_DEP_1)
	v_lshlrev_b64 v[16:17], 3, v[16:17]
	v_add_co_u32 v29, vcc_lo, s24, v16
	s_delay_alu instid0(VALU_DEP_2)
	v_add_co_ci_u32_e32 v30, vcc_lo, s25, v17, vcc_lo
	s_and_saveexec_b32 s23, s3
	s_cbranch_execz .LBB6_19
; %bb.18:                               ;   in Loop: Header=BB6_15 Depth=1
	s_delay_alu instid0(VALU_DEP_2) | instskip(NEXT) | instid1(VALU_DEP_2)
	v_add_co_u32 v16, vcc_lo, v29, v6
	v_add_co_ci_u32_e32 v17, vcc_lo, v30, v7, vcc_lo
	global_load_b64 v[16:17], v[16:17], off
	s_waitcnt vmcnt(0)
	ds_store_b64 v25, v[16:17]
.LBB6_19:                               ;   in Loop: Header=BB6_15 Depth=1
	s_or_b32 exec_lo, exec_lo, s23
	s_mov_b32 s35, 0
	s_mov_b32 s23, 0
                                        ; implicit-def: $vgpr16_vgpr17
	s_and_saveexec_b32 s36, s2
	s_delay_alu instid0(SALU_CYCLE_1)
	s_xor_b32 s36, exec_lo, s36
; %bb.20:                               ;   in Loop: Header=BB6_15 Depth=1
	v_add_co_u32 v16, vcc_lo, v29, v8
	v_add_co_ci_u32_e32 v17, vcc_lo, v30, v9, vcc_lo
	s_mov_b32 s23, exec_lo
; %bb.21:                               ;   in Loop: Header=BB6_15 Depth=1
	s_or_b32 exec_lo, exec_lo, s36
	s_delay_alu instid0(SALU_CYCLE_1)
	s_and_b32 vcc_lo, exec_lo, s35
	s_cbranch_vccnz .LBB6_23
	s_branch .LBB6_28
.LBB6_22:                               ;   in Loop: Header=BB6_15 Depth=1
	s_mov_b32 s23, 0
                                        ; implicit-def: $vgpr16_vgpr17
	s_cbranch_execz .LBB6_28
.LBB6_23:                               ;   in Loop: Header=BB6_15 Depth=1
	s_delay_alu instid0(VALU_DEP_1) | instskip(NEXT) | instid1(VALU_DEP_1)
	v_lshlrev_b64 v[14:15], 3, v[14:15]
	v_add_co_u32 v14, vcc_lo, s24, v14
	s_delay_alu instid0(VALU_DEP_2)
	v_add_co_ci_u32_e32 v15, vcc_lo, s25, v15, vcc_lo
	s_and_saveexec_b32 s35, s3
	s_cbranch_execz .LBB6_25
; %bb.24:                               ;   in Loop: Header=BB6_15 Depth=1
	s_delay_alu instid0(VALU_DEP_2) | instskip(NEXT) | instid1(VALU_DEP_2)
	v_add_co_u32 v16, vcc_lo, v14, v10
	v_add_co_ci_u32_e32 v17, vcc_lo, v15, v11, vcc_lo
	global_load_b64 v[16:17], v[16:17], off
	s_waitcnt vmcnt(0)
	ds_store_b64 v25, v[16:17]
.LBB6_25:                               ;   in Loop: Header=BB6_15 Depth=1
	s_or_b32 exec_lo, exec_lo, s35
                                        ; implicit-def: $vgpr16_vgpr17
	s_and_saveexec_b32 s35, s2
; %bb.26:                               ;   in Loop: Header=BB6_15 Depth=1
	v_add_co_u32 v16, vcc_lo, v14, v12
	v_add_co_ci_u32_e32 v17, vcc_lo, v15, v13, vcc_lo
	s_or_b32 s23, s23, exec_lo
; %bb.27:                               ;   in Loop: Header=BB6_15 Depth=1
	s_or_b32 exec_lo, exec_lo, s35
.LBB6_28:                               ;   in Loop: Header=BB6_15 Depth=1
	s_delay_alu instid0(SALU_CYCLE_1)
	s_and_b32 exec_lo, exec_lo, s23
	s_cbranch_execz .LBB6_30
; %bb.29:                               ;   in Loop: Header=BB6_15 Depth=1
	global_load_b64 v[14:15], v[16:17], off
	s_waitcnt vmcnt(0)
	ds_store_b64 v25, v[14:15] offset:512
.LBB6_30:                               ;   in Loop: Header=BB6_15 Depth=1
	s_or_b32 exec_lo, exec_lo, s34
	s_and_saveexec_b32 s23, s15
	s_cbranch_execz .LBB6_32
; %bb.31:                               ;   in Loop: Header=BB6_15 Depth=1
	v_mad_u64_u32 v[14:15], null, s31, s22, v[5:6]
	s_delay_alu instid0(VALU_DEP_1) | instskip(NEXT) | instid1(VALU_DEP_1)
	v_ashrrev_i32_e32 v15, 31, v14
	v_lshlrev_b64 v[14:15], 3, v[14:15]
	s_waitcnt lgkmcnt(0)
	s_delay_alu instid0(VALU_DEP_1) | instskip(NEXT) | instid1(VALU_DEP_2)
	v_add_co_u32 v14, vcc_lo, s18, v14
	v_add_co_ci_u32_e32 v15, vcc_lo, s19, v15, vcc_lo
	global_load_b64 v[14:15], v[14:15], off
	s_waitcnt vmcnt(0)
	ds_store_b64 v24, v[14:15]
.LBB6_32:                               ;   in Loop: Header=BB6_15 Depth=1
	s_or_b32 exec_lo, exec_lo, s23
	s_waitcnt lgkmcnt(0)
	s_barrier
	buffer_gl0_inv
	s_and_saveexec_b32 s23, s4
	s_cbranch_execz .LBB6_14
; %bb.33:                               ;   in Loop: Header=BB6_15 Depth=1
	s_and_saveexec_b32 s34, s20
	s_cbranch_execz .LBB6_41
; %bb.34:                               ;   in Loop: Header=BB6_15 Depth=1
	s_and_not1_b32 vcc_lo, exec_lo, s29
	s_cbranch_vccnz .LBB6_38
; %bb.35:                               ;   in Loop: Header=BB6_15 Depth=1
	v_dual_mov_b32 v14, v27 :: v_dual_mov_b32 v15, v26
	s_mov_b32 s35, 0
.LBB6_36:                               ;   Parent Loop BB6_15 Depth=1
                                        ; =>  This Inner Loop Header: Depth=2
	ds_load_b128 v[29:32], v15
	ds_load_b128 v[33:36], v14
	ds_load_b128 v[37:40], v14 offset:16
	ds_load_b128 v[41:44], v15 offset:16
	s_add_i32 s35, s35, 8
	s_delay_alu instid0(SALU_CYCLE_1) | instskip(SKIP_3) | instid1(VALU_DEP_2)
	s_cmp_lg_u32 s30, s35
	s_waitcnt lgkmcnt(2)
	v_fmac_f32_e32 v23, v33, v29
	v_fmac_f32_e32 v22, v34, v29
	v_fma_f32 v16, -v34, v30, v23
	s_delay_alu instid0(VALU_DEP_2) | instskip(NEXT) | instid1(VALU_DEP_2)
	v_fmac_f32_e32 v22, v33, v30
	v_fmac_f32_e32 v16, v35, v31
	s_delay_alu instid0(VALU_DEP_2) | instskip(NEXT) | instid1(VALU_DEP_2)
	v_fmac_f32_e32 v22, v36, v31
	v_fma_f32 v16, -v36, v32, v16
	s_delay_alu instid0(VALU_DEP_2)
	v_fmac_f32_e32 v22, v35, v32
	ds_load_b128 v[29:32], v15 offset:32
	ds_load_b128 v[33:36], v14 offset:32
	s_waitcnt lgkmcnt(2)
	v_fmac_f32_e32 v16, v37, v41
	v_fmac_f32_e32 v22, v38, v41
	s_delay_alu instid0(VALU_DEP_2) | instskip(NEXT) | instid1(VALU_DEP_2)
	v_fma_f32 v16, -v38, v42, v16
	v_fmac_f32_e32 v22, v37, v42
	s_delay_alu instid0(VALU_DEP_2) | instskip(NEXT) | instid1(VALU_DEP_2)
	v_fmac_f32_e32 v16, v39, v43
	v_fmac_f32_e32 v22, v40, v43
	s_delay_alu instid0(VALU_DEP_2) | instskip(NEXT) | instid1(VALU_DEP_2)
	v_fma_f32 v16, -v40, v44, v16
	v_fmac_f32_e32 v22, v39, v44
	ds_load_b128 v[37:40], v14 offset:48
	ds_load_b128 v[41:44], v15 offset:48
	v_add_nc_u32_e32 v15, 64, v15
	v_add_nc_u32_e32 v14, 64, v14
	s_waitcnt lgkmcnt(2)
	v_fmac_f32_e32 v16, v33, v29
	v_fmac_f32_e32 v22, v34, v29
	s_delay_alu instid0(VALU_DEP_2) | instskip(NEXT) | instid1(VALU_DEP_2)
	v_fma_f32 v16, -v34, v30, v16
	v_fmac_f32_e32 v22, v33, v30
	s_delay_alu instid0(VALU_DEP_2) | instskip(NEXT) | instid1(VALU_DEP_2)
	v_fmac_f32_e32 v16, v35, v31
	v_fmac_f32_e32 v22, v36, v31
	s_delay_alu instid0(VALU_DEP_2) | instskip(NEXT) | instid1(VALU_DEP_2)
	v_fma_f32 v16, -v36, v32, v16
	v_fmac_f32_e32 v22, v35, v32
	s_waitcnt lgkmcnt(0)
	s_delay_alu instid0(VALU_DEP_2) | instskip(NEXT) | instid1(VALU_DEP_2)
	v_fmac_f32_e32 v16, v37, v41
	v_fmac_f32_e32 v22, v38, v41
	s_delay_alu instid0(VALU_DEP_2) | instskip(NEXT) | instid1(VALU_DEP_2)
	v_fma_f32 v16, -v38, v42, v16
	v_fmac_f32_e32 v22, v37, v42
	s_delay_alu instid0(VALU_DEP_2) | instskip(NEXT) | instid1(VALU_DEP_2)
	v_fmac_f32_e32 v16, v39, v43
	v_fmac_f32_e32 v22, v40, v43
	s_delay_alu instid0(VALU_DEP_2) | instskip(NEXT) | instid1(VALU_DEP_2)
	v_fma_f32 v23, -v40, v44, v16
	v_fmac_f32_e32 v22, v39, v44
	s_cbranch_scc1 .LBB6_36
; %bb.37:                               ;   in Loop: Header=BB6_15 Depth=1
	s_mov_b32 s35, s30
	s_and_not1_b32 vcc_lo, exec_lo, s33
	s_cbranch_vccz .LBB6_39
	s_branch .LBB6_41
.LBB6_38:                               ;   in Loop: Header=BB6_15 Depth=1
	s_mov_b32 s35, 0
	s_and_not1_b32 vcc_lo, exec_lo, s33
	s_cbranch_vccnz .LBB6_41
.LBB6_39:                               ;   in Loop: Header=BB6_15 Depth=1
	s_lshl_b32 s35, s35, 3
	s_delay_alu instid0(SALU_CYCLE_1)
	v_add_nc_u32_e32 v14, s35, v26
	v_add_nc_u32_e32 v15, s35, v27
	s_mov_b32 s35, s28
.LBB6_40:                               ;   Parent Loop BB6_15 Depth=1
                                        ; =>  This Inner Loop Header: Depth=2
	ds_load_b64 v[16:17], v15
	ds_load_b64 v[29:30], v14
	s_add_i32 s35, s35, -1
	v_add_nc_u32_e32 v14, 8, v14
	v_add_nc_u32_e32 v15, 8, v15
	s_cmp_lg_u32 s35, 0
	s_waitcnt lgkmcnt(0)
	v_fmac_f32_e32 v23, v16, v29
	v_fmac_f32_e32 v22, v17, v29
	s_delay_alu instid0(VALU_DEP_2) | instskip(NEXT) | instid1(VALU_DEP_2)
	v_fma_f32 v23, -v17, v30, v23
	v_fmac_f32_e32 v22, v16, v30
	s_cbranch_scc1 .LBB6_40
.LBB6_41:                               ;   in Loop: Header=BB6_15 Depth=1
	s_or_b32 exec_lo, exec_lo, s34
	s_and_saveexec_b32 s34, s27
	s_cbranch_execz .LBB6_13
; %bb.42:                               ;   in Loop: Header=BB6_15 Depth=1
	s_and_not1_b32 vcc_lo, exec_lo, s29
	s_cbranch_vccnz .LBB6_46
; %bb.43:                               ;   in Loop: Header=BB6_15 Depth=1
	v_dual_mov_b32 v14, v27 :: v_dual_mov_b32 v15, v28
	s_mov_b32 s35, 0
.LBB6_44:                               ;   Parent Loop BB6_15 Depth=1
                                        ; =>  This Inner Loop Header: Depth=2
	ds_load_b128 v[29:32], v15
	ds_load_b128 v[33:36], v14
	ds_load_b128 v[37:40], v14 offset:16
	ds_load_b128 v[41:44], v15 offset:16
	s_add_i32 s35, s35, 8
	s_delay_alu instid0(SALU_CYCLE_1) | instskip(SKIP_3) | instid1(VALU_DEP_2)
	s_cmp_lg_u32 s30, s35
	s_waitcnt lgkmcnt(2)
	v_fmac_f32_e32 v3, v33, v29
	v_fmac_f32_e32 v1, v34, v29
	v_fma_f32 v3, -v34, v30, v3
	s_delay_alu instid0(VALU_DEP_2) | instskip(NEXT) | instid1(VALU_DEP_2)
	v_fmac_f32_e32 v1, v33, v30
	v_fmac_f32_e32 v3, v35, v31
	s_delay_alu instid0(VALU_DEP_2) | instskip(NEXT) | instid1(VALU_DEP_2)
	v_fmac_f32_e32 v1, v36, v31
	v_fma_f32 v3, -v36, v32, v3
	s_delay_alu instid0(VALU_DEP_2)
	v_fmac_f32_e32 v1, v35, v32
	ds_load_b128 v[29:32], v15 offset:32
	ds_load_b128 v[33:36], v14 offset:32
	s_waitcnt lgkmcnt(2)
	v_fmac_f32_e32 v3, v37, v41
	v_fmac_f32_e32 v1, v38, v41
	s_delay_alu instid0(VALU_DEP_2) | instskip(NEXT) | instid1(VALU_DEP_2)
	v_fma_f32 v3, -v38, v42, v3
	v_fmac_f32_e32 v1, v37, v42
	s_delay_alu instid0(VALU_DEP_2) | instskip(NEXT) | instid1(VALU_DEP_2)
	v_fmac_f32_e32 v3, v39, v43
	v_fmac_f32_e32 v1, v40, v43
	s_delay_alu instid0(VALU_DEP_2) | instskip(NEXT) | instid1(VALU_DEP_2)
	v_fma_f32 v3, -v40, v44, v3
	v_fmac_f32_e32 v1, v39, v44
	ds_load_b128 v[37:40], v14 offset:48
	ds_load_b128 v[41:44], v15 offset:48
	v_add_nc_u32_e32 v14, 64, v14
	v_add_nc_u32_e32 v15, 64, v15
	s_waitcnt lgkmcnt(2)
	v_fmac_f32_e32 v3, v33, v29
	v_fmac_f32_e32 v1, v34, v29
	s_delay_alu instid0(VALU_DEP_2) | instskip(NEXT) | instid1(VALU_DEP_2)
	v_fma_f32 v3, -v34, v30, v3
	v_fmac_f32_e32 v1, v33, v30
	s_delay_alu instid0(VALU_DEP_2) | instskip(NEXT) | instid1(VALU_DEP_2)
	v_fmac_f32_e32 v3, v35, v31
	v_fmac_f32_e32 v1, v36, v31
	s_delay_alu instid0(VALU_DEP_2) | instskip(NEXT) | instid1(VALU_DEP_2)
	v_fma_f32 v3, -v36, v32, v3
	v_fmac_f32_e32 v1, v35, v32
	s_waitcnt lgkmcnt(0)
	s_delay_alu instid0(VALU_DEP_2) | instskip(NEXT) | instid1(VALU_DEP_2)
	v_fmac_f32_e32 v3, v37, v41
	v_fmac_f32_e32 v1, v38, v41
	s_delay_alu instid0(VALU_DEP_2) | instskip(NEXT) | instid1(VALU_DEP_2)
	v_fma_f32 v3, -v38, v42, v3
	v_fmac_f32_e32 v1, v37, v42
	s_delay_alu instid0(VALU_DEP_2) | instskip(NEXT) | instid1(VALU_DEP_2)
	v_fmac_f32_e32 v3, v39, v43
	v_fmac_f32_e32 v1, v40, v43
	s_delay_alu instid0(VALU_DEP_2) | instskip(NEXT) | instid1(VALU_DEP_2)
	v_fma_f32 v3, -v40, v44, v3
	v_fmac_f32_e32 v1, v39, v44
	s_cbranch_scc1 .LBB6_44
; %bb.45:                               ;   in Loop: Header=BB6_15 Depth=1
	s_mov_b32 s35, s30
	s_and_not1_b32 vcc_lo, exec_lo, s33
	s_cbranch_vccz .LBB6_47
	s_branch .LBB6_13
.LBB6_46:                               ;   in Loop: Header=BB6_15 Depth=1
	s_mov_b32 s35, 0
	s_and_not1_b32 vcc_lo, exec_lo, s33
	s_cbranch_vccnz .LBB6_13
.LBB6_47:                               ;   in Loop: Header=BB6_15 Depth=1
	s_lshl_b32 s35, s35, 3
	s_delay_alu instid0(SALU_CYCLE_1)
	v_add_nc_u32_e32 v14, s35, v28
	v_add_nc_u32_e32 v15, s35, v27
	s_mov_b32 s35, s28
.LBB6_48:                               ;   Parent Loop BB6_15 Depth=1
                                        ; =>  This Inner Loop Header: Depth=2
	ds_load_b64 v[16:17], v15
	ds_load_b64 v[29:30], v14
	v_add_nc_u32_e32 v15, 8, v15
	s_add_i32 s35, s35, -1
	v_add_nc_u32_e32 v14, 8, v14
	s_cmp_lg_u32 s35, 0
	s_waitcnt lgkmcnt(0)
	v_fmac_f32_e32 v3, v16, v29
	v_fmac_f32_e32 v1, v17, v29
	s_delay_alu instid0(VALU_DEP_2) | instskip(NEXT) | instid1(VALU_DEP_2)
	v_fma_f32 v3, -v17, v30, v3
	v_fmac_f32_e32 v1, v16, v30
	s_cbranch_scc1 .LBB6_48
	s_branch .LBB6_13
.LBB6_49:
	v_dual_mov_b32 v2, s2 :: v_dual_mov_b32 v3, s3
	flat_load_b32 v19, v[2:3] offset:4
	v_cmp_ne_u32_e32 vcc_lo, 1, v1
	s_waitcnt lgkmcnt(0)
	v_mov_b32_e32 v20, s10
	s_cbranch_vccnz .LBB6_4
.LBB6_50:
	v_dual_mov_b32 v2, s10 :: v_dual_mov_b32 v3, s11
	flat_load_b32 v20, v[2:3]
	v_cmp_ne_u32_e32 vcc_lo, 1, v1
	v_mov_b32_e32 v21, s11
	s_cbranch_vccz .LBB6_5
	s_branch .LBB6_6
.LBB6_51:
	s_delay_alu instid0(VALU_DEP_1) | instskip(NEXT) | instid1(SALU_CYCLE_1)
	s_and_b32 s4, s7, s4
	s_and_b32 exec_lo, exec_lo, s4
	s_cbranch_execz .LBB6_62
; %bb.52:
	v_mad_u64_u32 v[5:6], null, s14, s12, v[4:5]
	s_load_b64 s[4:5], s[0:1], 0x58
	v_cmp_neq_f32_e32 vcc_lo, 0, v20
	v_cmp_neq_f32_e64 s0, 0, v21
	s_delay_alu instid0(VALU_DEP_3) | instskip(NEXT) | instid1(VALU_DEP_2)
	v_ashrrev_i32_e32 v6, 31, v5
	s_or_b32 s0, vcc_lo, s0
	s_delay_alu instid0(VALU_DEP_1) | instskip(NEXT) | instid1(VALU_DEP_1)
	v_lshlrev_b64 v[4:5], 3, v[5:6]
	v_add_co_u32 v4, s1, s10, v4
	s_delay_alu instid0(VALU_DEP_1)
	v_add_co_ci_u32_e64 v5, s1, s11, v5, s1
	s_and_saveexec_b32 s1, s3
	s_cbranch_execz .LBB6_57
; %bb.53:
	s_and_saveexec_b32 s3, s0
	s_delay_alu instid0(SALU_CYCLE_1)
	s_xor_b32 s3, exec_lo, s3
	s_cbranch_execz .LBB6_55
; %bb.54:
	v_ashrrev_i32_e32 v8, 31, v2
	s_waitcnt lgkmcnt(0)
	v_mul_lo_u32 v9, v2, s5
	v_mad_u64_u32 v[6:7], null, v2, s4, 0
	s_delay_alu instid0(VALU_DEP_3) | instskip(NEXT) | instid1(VALU_DEP_1)
	v_mul_lo_u32 v2, v8, s4
	v_add3_u32 v7, v7, v9, v2
	v_mul_f32_e64 v2, v22, -v19
	s_delay_alu instid0(VALU_DEP_2) | instskip(NEXT) | instid1(VALU_DEP_1)
	v_lshlrev_b64 v[6:7], 3, v[6:7]
	v_add_co_u32 v6, vcc_lo, v4, v6
	s_delay_alu instid0(VALU_DEP_2) | instskip(SKIP_4) | instid1(VALU_DEP_1)
	v_add_co_ci_u32_e32 v7, vcc_lo, v5, v7, vcc_lo
	global_load_b64 v[8:9], v[6:7], off
	v_fmac_f32_e32 v2, v18, v23
	v_mul_f32_e32 v11, v22, v18
                                        ; implicit-def: $vgpr22
	s_waitcnt vmcnt(0)
	v_dual_fmac_f32 v2, v20, v8 :: v_dual_fmac_f32 v11, v19, v23
                                        ; implicit-def: $vgpr23
	s_delay_alu instid0(VALU_DEP_1) | instskip(NEXT) | instid1(VALU_DEP_2)
	v_fma_f32 v10, -v21, v9, v2
	v_fmac_f32_e32 v11, v21, v8
                                        ; implicit-def: $vgpr2
	s_delay_alu instid0(VALU_DEP_1)
	v_fmac_f32_e32 v11, v20, v9
	global_store_b64 v[6:7], v[10:11], off
.LBB6_55:
	s_and_not1_saveexec_b32 s3, s3
	s_cbranch_execz .LBB6_57
; %bb.56:
	v_ashrrev_i32_e32 v8, 31, v2
	s_waitcnt lgkmcnt(0)
	v_mul_lo_u32 v9, v2, s5
	v_mad_u64_u32 v[6:7], null, v2, s4, 0
	s_delay_alu instid0(VALU_DEP_3) | instskip(SKIP_1) | instid1(VALU_DEP_1)
	v_mul_lo_u32 v2, v8, s4
	v_mul_f32_e64 v8, v22, -v19
	v_fmac_f32_e32 v8, v18, v23
	s_delay_alu instid0(VALU_DEP_3) | instskip(SKIP_1) | instid1(VALU_DEP_2)
	v_add3_u32 v7, v7, v9, v2
	v_mul_f32_e32 v9, v22, v18
	v_lshlrev_b64 v[6:7], 3, v[6:7]
	s_delay_alu instid0(VALU_DEP_2) | instskip(NEXT) | instid1(VALU_DEP_2)
	v_fmac_f32_e32 v9, v19, v23
	v_add_co_u32 v6, vcc_lo, v4, v6
	s_delay_alu instid0(VALU_DEP_3)
	v_add_co_ci_u32_e32 v7, vcc_lo, v5, v7, vcc_lo
	global_store_b64 v[6:7], v[8:9], off
.LBB6_57:
	s_or_b32 exec_lo, exec_lo, s1
	s_delay_alu instid0(SALU_CYCLE_1)
	s_and_b32 exec_lo, exec_lo, s2
	s_cbranch_execz .LBB6_62
; %bb.58:
	s_and_saveexec_b32 s1, s0
	s_delay_alu instid0(SALU_CYCLE_1)
	s_xor_b32 s0, exec_lo, s1
	s_cbranch_execz .LBB6_60
; %bb.59:
	v_ashrrev_i32_e32 v2, 31, v0
	s_waitcnt lgkmcnt(0)
	v_mul_lo_u32 v8, v0, s5
	v_mad_u64_u32 v[6:7], null, v0, s4, 0
	s_delay_alu instid0(VALU_DEP_3) | instskip(NEXT) | instid1(VALU_DEP_1)
	v_mul_lo_u32 v0, v2, s4
	v_add3_u32 v7, v7, v8, v0
	v_mul_f32_e64 v0, v1, -v19
	v_mul_f32_e32 v1, v1, v18
	s_delay_alu instid0(VALU_DEP_3) | instskip(NEXT) | instid1(VALU_DEP_3)
	v_lshlrev_b64 v[6:7], 3, v[6:7]
	v_fmac_f32_e32 v0, v18, v3
                                        ; implicit-def: $vgpr18
	s_delay_alu instid0(VALU_DEP_2) | instskip(NEXT) | instid1(VALU_DEP_3)
	v_add_co_u32 v4, vcc_lo, v4, v6
	v_add_co_ci_u32_e32 v5, vcc_lo, v5, v7, vcc_lo
	global_load_b64 v[6:7], v[4:5], off
	v_fmac_f32_e32 v1, v19, v3
                                        ; implicit-def: $vgpr19
                                        ; implicit-def: $vgpr3
	s_waitcnt vmcnt(0)
	v_fmac_f32_e32 v0, v20, v6
	s_delay_alu instid0(VALU_DEP_2) | instskip(NEXT) | instid1(VALU_DEP_2)
	v_fmac_f32_e32 v1, v21, v6
	v_fma_f32 v0, -v21, v7, v0
	s_delay_alu instid0(VALU_DEP_2)
	v_fmac_f32_e32 v1, v20, v7
	global_store_b64 v[4:5], v[0:1], off
                                        ; implicit-def: $vgpr1
                                        ; implicit-def: $vgpr0
                                        ; implicit-def: $vgpr4
                                        ; implicit-def: $vgpr5
.LBB6_60:
	s_and_not1_saveexec_b32 s0, s0
	s_cbranch_execz .LBB6_62
; %bb.61:
	v_ashrrev_i32_e32 v2, 31, v0
	s_waitcnt lgkmcnt(0)
	v_mul_lo_u32 v8, v0, s5
	v_mad_u64_u32 v[6:7], null, v0, s4, 0
	s_delay_alu instid0(VALU_DEP_3) | instskip(NEXT) | instid1(VALU_DEP_1)
	v_mul_lo_u32 v0, v2, s4
	v_add3_u32 v7, v7, v8, v0
	v_mul_f32_e64 v0, v1, -v19
	v_mul_f32_e32 v1, v1, v18
	s_delay_alu instid0(VALU_DEP_3) | instskip(NEXT) | instid1(VALU_DEP_3)
	v_lshlrev_b64 v[6:7], 3, v[6:7]
	v_fmac_f32_e32 v0, v18, v3
	s_delay_alu instid0(VALU_DEP_3) | instskip(NEXT) | instid1(VALU_DEP_3)
	v_fmac_f32_e32 v1, v19, v3
	v_add_co_u32 v2, vcc_lo, v4, v6
	s_delay_alu instid0(VALU_DEP_4)
	v_add_co_ci_u32_e32 v3, vcc_lo, v5, v7, vcc_lo
	global_store_b64 v[2:3], v[0:1], off
.LBB6_62:
	s_nop 0
	s_sendmsg sendmsg(MSG_DEALLOC_VGPRS)
	s_endpgm
	.section	.rodata,"a",@progbits
	.p2align	6, 0x0
	.amdhsa_kernel _ZN9rocsparseL33gebsrmm_large_blockdim_kernel_extILi8ELi8ELi2E21rocsparse_complex_numIfEEEv20rocsparse_direction_20rocsparse_operation_iiNS_24const_host_device_scalarIT2_EEPKiS9_PKS6_iiSB_lS7_PS6_l21rocsparse_index_base_b
		.amdhsa_group_segment_fixed_size 1536
		.amdhsa_private_segment_fixed_size 0
		.amdhsa_kernarg_size 104
		.amdhsa_user_sgpr_count 14
		.amdhsa_user_sgpr_dispatch_ptr 0
		.amdhsa_user_sgpr_queue_ptr 0
		.amdhsa_user_sgpr_kernarg_segment_ptr 1
		.amdhsa_user_sgpr_dispatch_id 0
		.amdhsa_user_sgpr_private_segment_size 0
		.amdhsa_wavefront_size32 1
		.amdhsa_uses_dynamic_stack 0
		.amdhsa_enable_private_segment 0
		.amdhsa_system_sgpr_workgroup_id_x 1
		.amdhsa_system_sgpr_workgroup_id_y 1
		.amdhsa_system_sgpr_workgroup_id_z 0
		.amdhsa_system_sgpr_workgroup_info 0
		.amdhsa_system_vgpr_workitem_id 1
		.amdhsa_next_free_vgpr 45
		.amdhsa_next_free_sgpr 38
		.amdhsa_reserve_vcc 1
		.amdhsa_float_round_mode_32 0
		.amdhsa_float_round_mode_16_64 0
		.amdhsa_float_denorm_mode_32 3
		.amdhsa_float_denorm_mode_16_64 3
		.amdhsa_dx10_clamp 1
		.amdhsa_ieee_mode 1
		.amdhsa_fp16_overflow 0
		.amdhsa_workgroup_processor_mode 1
		.amdhsa_memory_ordered 1
		.amdhsa_forward_progress 0
		.amdhsa_shared_vgpr_count 0
		.amdhsa_exception_fp_ieee_invalid_op 0
		.amdhsa_exception_fp_denorm_src 0
		.amdhsa_exception_fp_ieee_div_zero 0
		.amdhsa_exception_fp_ieee_overflow 0
		.amdhsa_exception_fp_ieee_underflow 0
		.amdhsa_exception_fp_ieee_inexact 0
		.amdhsa_exception_int_div_zero 0
	.end_amdhsa_kernel
	.section	.text._ZN9rocsparseL33gebsrmm_large_blockdim_kernel_extILi8ELi8ELi2E21rocsparse_complex_numIfEEEv20rocsparse_direction_20rocsparse_operation_iiNS_24const_host_device_scalarIT2_EEPKiS9_PKS6_iiSB_lS7_PS6_l21rocsparse_index_base_b,"axG",@progbits,_ZN9rocsparseL33gebsrmm_large_blockdim_kernel_extILi8ELi8ELi2E21rocsparse_complex_numIfEEEv20rocsparse_direction_20rocsparse_operation_iiNS_24const_host_device_scalarIT2_EEPKiS9_PKS6_iiSB_lS7_PS6_l21rocsparse_index_base_b,comdat
.Lfunc_end6:
	.size	_ZN9rocsparseL33gebsrmm_large_blockdim_kernel_extILi8ELi8ELi2E21rocsparse_complex_numIfEEEv20rocsparse_direction_20rocsparse_operation_iiNS_24const_host_device_scalarIT2_EEPKiS9_PKS6_iiSB_lS7_PS6_l21rocsparse_index_base_b, .Lfunc_end6-_ZN9rocsparseL33gebsrmm_large_blockdim_kernel_extILi8ELi8ELi2E21rocsparse_complex_numIfEEEv20rocsparse_direction_20rocsparse_operation_iiNS_24const_host_device_scalarIT2_EEPKiS9_PKS6_iiSB_lS7_PS6_l21rocsparse_index_base_b
                                        ; -- End function
	.section	.AMDGPU.csdata,"",@progbits
; Kernel info:
; codeLenInByte = 2888
; NumSgprs: 40
; NumVgprs: 45
; ScratchSize: 0
; MemoryBound: 0
; FloatMode: 240
; IeeeMode: 1
; LDSByteSize: 1536 bytes/workgroup (compile time only)
; SGPRBlocks: 4
; VGPRBlocks: 5
; NumSGPRsForWavesPerEU: 40
; NumVGPRsForWavesPerEU: 45
; Occupancy: 16
; WaveLimiterHint : 1
; COMPUTE_PGM_RSRC2:SCRATCH_EN: 0
; COMPUTE_PGM_RSRC2:USER_SGPR: 14
; COMPUTE_PGM_RSRC2:TRAP_HANDLER: 0
; COMPUTE_PGM_RSRC2:TGID_X_EN: 1
; COMPUTE_PGM_RSRC2:TGID_Y_EN: 1
; COMPUTE_PGM_RSRC2:TGID_Z_EN: 0
; COMPUTE_PGM_RSRC2:TIDIG_COMP_CNT: 1
	.section	.text._ZN9rocsparseL33gebsrmm_large_blockdim_kernel_extILi16ELi16ELi2E21rocsparse_complex_numIfEEEv20rocsparse_direction_20rocsparse_operation_iiNS_24const_host_device_scalarIT2_EEPKiS9_PKS6_iiSB_lS7_PS6_l21rocsparse_index_base_b,"axG",@progbits,_ZN9rocsparseL33gebsrmm_large_blockdim_kernel_extILi16ELi16ELi2E21rocsparse_complex_numIfEEEv20rocsparse_direction_20rocsparse_operation_iiNS_24const_host_device_scalarIT2_EEPKiS9_PKS6_iiSB_lS7_PS6_l21rocsparse_index_base_b,comdat
	.globl	_ZN9rocsparseL33gebsrmm_large_blockdim_kernel_extILi16ELi16ELi2E21rocsparse_complex_numIfEEEv20rocsparse_direction_20rocsparse_operation_iiNS_24const_host_device_scalarIT2_EEPKiS9_PKS6_iiSB_lS7_PS6_l21rocsparse_index_base_b ; -- Begin function _ZN9rocsparseL33gebsrmm_large_blockdim_kernel_extILi16ELi16ELi2E21rocsparse_complex_numIfEEEv20rocsparse_direction_20rocsparse_operation_iiNS_24const_host_device_scalarIT2_EEPKiS9_PKS6_iiSB_lS7_PS6_l21rocsparse_index_base_b
	.p2align	8
	.type	_ZN9rocsparseL33gebsrmm_large_blockdim_kernel_extILi16ELi16ELi2E21rocsparse_complex_numIfEEEv20rocsparse_direction_20rocsparse_operation_iiNS_24const_host_device_scalarIT2_EEPKiS9_PKS6_iiSB_lS7_PS6_l21rocsparse_index_base_b,@function
_ZN9rocsparseL33gebsrmm_large_blockdim_kernel_extILi16ELi16ELi2E21rocsparse_complex_numIfEEEv20rocsparse_direction_20rocsparse_operation_iiNS_24const_host_device_scalarIT2_EEPKiS9_PKS6_iiSB_lS7_PS6_l21rocsparse_index_base_b: ; @_ZN9rocsparseL33gebsrmm_large_blockdim_kernel_extILi16ELi16ELi2E21rocsparse_complex_numIfEEEv20rocsparse_direction_20rocsparse_operation_iiNS_24const_host_device_scalarIT2_EEPKiS9_PKS6_iiSB_lS7_PS6_l21rocsparse_index_base_b
; %bb.0:
	s_clause 0x1
	s_load_b64 s[6:7], s[0:1], 0x60
	s_load_b64 s[2:3], s[0:1], 0x10
	s_waitcnt lgkmcnt(0)
	s_bitcmp1_b32 s7, 0
	v_mov_b32_e32 v18, s2
	s_cselect_b32 s4, -1, 0
	s_delay_alu instid0(SALU_CYCLE_1)
	s_and_b32 vcc_lo, exec_lo, s4
	s_xor_b32 s4, s4, -1
	s_cbranch_vccnz .LBB7_2
; %bb.1:
	v_dual_mov_b32 v1, s2 :: v_dual_mov_b32 v2, s3
	flat_load_b32 v18, v[1:2]
.LBB7_2:
	s_load_b128 s[8:11], s[0:1], 0x40
	v_cndmask_b32_e64 v1, 0, 1, s4
	v_mov_b32_e32 v19, s3
	s_and_not1_b32 vcc_lo, exec_lo, s4
	s_cbranch_vccz .LBB7_49
; %bb.3:
	s_delay_alu instid0(VALU_DEP_2)
	v_cmp_ne_u32_e32 vcc_lo, 1, v1
	s_waitcnt lgkmcnt(0)
	v_mov_b32_e32 v20, s10
	s_cbranch_vccz .LBB7_50
.LBB7_4:
	v_cmp_ne_u32_e32 vcc_lo, 1, v1
	v_mov_b32_e32 v21, s11
	s_cbranch_vccnz .LBB7_6
.LBB7_5:
	v_dual_mov_b32 v1, s10 :: v_dual_mov_b32 v2, s11
	flat_load_b32 v21, v[1:2] offset:4
.LBB7_6:
	s_waitcnt vmcnt(0)
	v_cmp_eq_f32_e32 vcc_lo, 0, v18
	v_cmp_eq_f32_e64 s2, 0, v19
	s_delay_alu instid0(VALU_DEP_1)
	s_and_b32 s4, vcc_lo, s2
	s_mov_b32 s2, -1
	s_and_saveexec_b32 s3, s4
	s_cbranch_execz .LBB7_8
; %bb.7:
	s_waitcnt lgkmcnt(0)
	v_cmp_neq_f32_e32 vcc_lo, 1.0, v20
	v_cmp_neq_f32_e64 s2, 0, v21
	s_delay_alu instid0(VALU_DEP_1) | instskip(NEXT) | instid1(SALU_CYCLE_1)
	s_or_b32 s2, vcc_lo, s2
	s_or_not1_b32 s2, s2, exec_lo
.LBB7_8:
	s_or_b32 exec_lo, exec_lo, s3
	s_and_saveexec_b32 s3, s2
	s_cbranch_execz .LBB7_62
; %bb.9:
	s_load_b128 s[20:23], s[0:1], 0x0
	s_mov_b32 s26, 0
	s_waitcnt lgkmcnt(0)
	s_cmp_lt_i32 s14, s22
	s_cselect_b32 s7, -1, 0
	s_cmp_ge_i32 s14, s22
	s_mov_b32 s22, 0
	s_cbranch_scc1 .LBB7_11
; %bb.10:
	s_load_b64 s[4:5], s[0:1], 0x18
	s_mov_b32 s2, s15
	s_ashr_i32 s15, s14, 31
	s_delay_alu instid0(SALU_CYCLE_1)
	s_lshl_b64 s[10:11], s[14:15], 2
	s_mov_b32 s15, s2
	s_waitcnt lgkmcnt(0)
	s_add_u32 s2, s4, s10
	s_addc_u32 s3, s5, s11
	s_load_b64 s[2:3], s[2:3], 0x0
	s_waitcnt lgkmcnt(0)
	s_sub_i32 s22, s2, s6
	s_sub_i32 s26, s3, s6
.LBB7_11:
	s_clause 0x1
	s_load_b64 s[12:13], s[0:1], 0x30
	s_load_b64 s[10:11], s[0:1], 0x50
	v_bfe_u32 v5, v0, 10, 10
	v_dual_mov_b32 v1, 0 :: v_dual_and_b32 v4, 0x3ff, v0
	v_dual_mov_b32 v22, 0 :: v_dual_mov_b32 v23, 0
	s_delay_alu instid0(VALU_DEP_3) | instskip(SKIP_1) | instid1(VALU_DEP_1)
	v_lshl_add_u32 v2, s15, 5, v5
	s_cmp_ge_i32 s22, s26
	v_dual_mov_b32 v3, 0 :: v_dual_add_nc_u32 v0, 16, v2
	v_cmp_gt_i32_e64 s3, s23, v2
	s_delay_alu instid0(VALU_DEP_2)
	v_cmp_gt_i32_e64 s2, s23, v0
	s_waitcnt lgkmcnt(0)
	v_cmp_gt_i32_e64 s4, s12, v4
	s_cbranch_scc1 .LBB7_51
; %bb.12:
	v_ashrrev_i32_e32 v3, 31, v2
	v_ashrrev_i32_e32 v1, 31, v0
	v_cmp_gt_i32_e32 vcc_lo, s13, v5
	v_mad_u64_u32 v[6:7], null, v5, s12, v[4:5]
	s_clause 0x1
	s_load_b128 s[16:19], s[0:1], 0x20
	s_load_b64 s[24:25], s[0:1], 0x38
	v_mul_lo_u32 v15, v2, s9
	v_mul_lo_u32 v16, v3, s8
	v_mad_u64_u32 v[10:11], null, v2, s8, 0
	v_mul_lo_u32 v17, v0, s9
	v_mul_lo_u32 v22, v1, s8
	v_mad_u64_u32 v[12:13], null, v0, s8, 0
	s_and_b32 s15, s4, vcc_lo
	s_cmpk_lg_i32 s21, 0x6f
	v_mad_u64_u32 v[7:8], null, v4, s13, v[5:6]
	s_cselect_b32 s21, -1, 0
	s_cmp_eq_u32 s20, 0
	v_lshlrev_b32_e32 v9, 4, v5
	s_cselect_b32 vcc_lo, -1, 0
	s_cmp_gt_i32 s13, 0
	v_add3_u32 v11, v11, v15, v16
	v_add3_u32 v13, v13, v17, v22
	v_mov_b32_e32 v22, 0
	v_lshl_add_u32 v14, v4, 4, v5
	s_cselect_b32 s23, -1, 0
	v_dual_cndmask_b32 v5, v6, v7 :: v_dual_lshlrev_b32 v26, 7, v5
	s_and_b32 s20, s3, s23
	s_and_b32 s27, s2, s23
	s_and_b32 s28, s13, 7
	s_cmp_gt_u32 s13, 7
	v_add_lshl_u32 v25, v9, v4, 3
	v_lshlrev_b64 v[6:7], 3, v[2:3]
	v_lshlrev_b64 v[8:9], 3, v[0:1]
	;; [unrolled: 1-line block ×4, first 2 shown]
	v_cmp_gt_i32_e64 s5, s13, v4
	v_lshl_add_u32 v24, v14, 3, 0x1000
	s_cselect_b32 s29, -1, 0
	s_and_b32 s30, s13, 0x7ffffff8
	v_lshl_add_u32 v27, v4, 7, 0x1000
	v_dual_mov_b32 v23, 0 :: v_dual_add_nc_u32 v28, 0x800, v26
	v_mov_b32_e32 v3, 0
	v_mov_b32_e32 v1, 0
	s_cmp_lg_u32 s28, 0
	s_mul_i32 s31, s13, s12
	s_cselect_b32 s33, -1, 0
	s_branch .LBB7_15
.LBB7_13:                               ;   in Loop: Header=BB7_15 Depth=1
	s_or_b32 exec_lo, exec_lo, s34
.LBB7_14:                               ;   in Loop: Header=BB7_15 Depth=1
	s_delay_alu instid0(SALU_CYCLE_1) | instskip(SKIP_1) | instid1(SALU_CYCLE_1)
	s_or_b32 exec_lo, exec_lo, s23
	s_add_i32 s22, s22, 1
	s_cmp_ge_i32 s22, s26
	s_barrier
	buffer_gl0_inv
	s_cbranch_scc1 .LBB7_51
.LBB7_15:                               ; =>This Loop Header: Depth=1
                                        ;     Child Loop BB7_36 Depth 2
                                        ;     Child Loop BB7_40 Depth 2
	;; [unrolled: 1-line block ×4, first 2 shown]
	s_and_saveexec_b32 s34, s5
	s_cbranch_execz .LBB7_30
; %bb.16:                               ;   in Loop: Header=BB7_15 Depth=1
	s_ashr_i32 s23, s22, 31
	s_delay_alu instid0(SALU_CYCLE_1)
	s_lshl_b64 s[36:37], s[22:23], 2
	s_waitcnt lgkmcnt(0)
	s_add_u32 s36, s16, s36
	s_addc_u32 s37, s17, s37
	s_and_not1_b32 vcc_lo, exec_lo, s21
	s_load_b32 s23, s[36:37], 0x0
	s_waitcnt lgkmcnt(0)
	s_sub_i32 s23, s23, s6
	s_delay_alu instid0(SALU_CYCLE_1) | instskip(NEXT) | instid1(VALU_DEP_1)
	v_mad_u64_u32 v[14:15], null, s23, s13, v[4:5]
	v_ashrrev_i32_e32 v15, 31, v14
	s_cbranch_vccnz .LBB7_22
; %bb.17:                               ;   in Loop: Header=BB7_15 Depth=1
	s_delay_alu instid0(VALU_DEP_1) | instskip(SKIP_2) | instid1(VALU_DEP_1)
	v_mul_lo_u32 v29, v15, s8
	v_mul_lo_u32 v30, v14, s9
	v_mad_u64_u32 v[16:17], null, v14, s8, 0
	v_add3_u32 v17, v17, v30, v29
	s_delay_alu instid0(VALU_DEP_1) | instskip(NEXT) | instid1(VALU_DEP_1)
	v_lshlrev_b64 v[16:17], 3, v[16:17]
	v_add_co_u32 v29, vcc_lo, s24, v16
	s_delay_alu instid0(VALU_DEP_2)
	v_add_co_ci_u32_e32 v30, vcc_lo, s25, v17, vcc_lo
	s_and_saveexec_b32 s23, s3
	s_cbranch_execz .LBB7_19
; %bb.18:                               ;   in Loop: Header=BB7_15 Depth=1
	s_delay_alu instid0(VALU_DEP_2) | instskip(NEXT) | instid1(VALU_DEP_2)
	v_add_co_u32 v16, vcc_lo, v29, v6
	v_add_co_ci_u32_e32 v17, vcc_lo, v30, v7, vcc_lo
	global_load_b64 v[16:17], v[16:17], off
	s_waitcnt vmcnt(0)
	ds_store_b64 v25, v[16:17]
.LBB7_19:                               ;   in Loop: Header=BB7_15 Depth=1
	s_or_b32 exec_lo, exec_lo, s23
	s_mov_b32 s35, 0
	s_mov_b32 s23, 0
                                        ; implicit-def: $vgpr16_vgpr17
	s_and_saveexec_b32 s36, s2
	s_delay_alu instid0(SALU_CYCLE_1)
	s_xor_b32 s36, exec_lo, s36
; %bb.20:                               ;   in Loop: Header=BB7_15 Depth=1
	v_add_co_u32 v16, vcc_lo, v29, v8
	v_add_co_ci_u32_e32 v17, vcc_lo, v30, v9, vcc_lo
	s_mov_b32 s23, exec_lo
; %bb.21:                               ;   in Loop: Header=BB7_15 Depth=1
	s_or_b32 exec_lo, exec_lo, s36
	s_delay_alu instid0(SALU_CYCLE_1)
	s_and_b32 vcc_lo, exec_lo, s35
	s_cbranch_vccnz .LBB7_23
	s_branch .LBB7_28
.LBB7_22:                               ;   in Loop: Header=BB7_15 Depth=1
	s_mov_b32 s23, 0
                                        ; implicit-def: $vgpr16_vgpr17
	s_cbranch_execz .LBB7_28
.LBB7_23:                               ;   in Loop: Header=BB7_15 Depth=1
	s_delay_alu instid0(VALU_DEP_1) | instskip(NEXT) | instid1(VALU_DEP_1)
	v_lshlrev_b64 v[14:15], 3, v[14:15]
	v_add_co_u32 v14, vcc_lo, s24, v14
	s_delay_alu instid0(VALU_DEP_2)
	v_add_co_ci_u32_e32 v15, vcc_lo, s25, v15, vcc_lo
	s_and_saveexec_b32 s35, s3
	s_cbranch_execz .LBB7_25
; %bb.24:                               ;   in Loop: Header=BB7_15 Depth=1
	s_delay_alu instid0(VALU_DEP_2) | instskip(NEXT) | instid1(VALU_DEP_2)
	v_add_co_u32 v16, vcc_lo, v14, v10
	v_add_co_ci_u32_e32 v17, vcc_lo, v15, v11, vcc_lo
	global_load_b64 v[16:17], v[16:17], off
	s_waitcnt vmcnt(0)
	ds_store_b64 v25, v[16:17]
.LBB7_25:                               ;   in Loop: Header=BB7_15 Depth=1
	s_or_b32 exec_lo, exec_lo, s35
                                        ; implicit-def: $vgpr16_vgpr17
	s_and_saveexec_b32 s35, s2
; %bb.26:                               ;   in Loop: Header=BB7_15 Depth=1
	v_add_co_u32 v16, vcc_lo, v14, v12
	v_add_co_ci_u32_e32 v17, vcc_lo, v15, v13, vcc_lo
	s_or_b32 s23, s23, exec_lo
; %bb.27:                               ;   in Loop: Header=BB7_15 Depth=1
	s_or_b32 exec_lo, exec_lo, s35
.LBB7_28:                               ;   in Loop: Header=BB7_15 Depth=1
	s_delay_alu instid0(SALU_CYCLE_1)
	s_and_b32 exec_lo, exec_lo, s23
	s_cbranch_execz .LBB7_30
; %bb.29:                               ;   in Loop: Header=BB7_15 Depth=1
	global_load_b64 v[14:15], v[16:17], off
	s_waitcnt vmcnt(0)
	ds_store_b64 v25, v[14:15] offset:2048
.LBB7_30:                               ;   in Loop: Header=BB7_15 Depth=1
	s_or_b32 exec_lo, exec_lo, s34
	s_and_saveexec_b32 s23, s15
	s_cbranch_execz .LBB7_32
; %bb.31:                               ;   in Loop: Header=BB7_15 Depth=1
	v_mad_u64_u32 v[14:15], null, s31, s22, v[5:6]
	s_delay_alu instid0(VALU_DEP_1) | instskip(NEXT) | instid1(VALU_DEP_1)
	v_ashrrev_i32_e32 v15, 31, v14
	v_lshlrev_b64 v[14:15], 3, v[14:15]
	s_waitcnt lgkmcnt(0)
	s_delay_alu instid0(VALU_DEP_1) | instskip(NEXT) | instid1(VALU_DEP_2)
	v_add_co_u32 v14, vcc_lo, s18, v14
	v_add_co_ci_u32_e32 v15, vcc_lo, s19, v15, vcc_lo
	global_load_b64 v[14:15], v[14:15], off
	s_waitcnt vmcnt(0)
	ds_store_b64 v24, v[14:15]
.LBB7_32:                               ;   in Loop: Header=BB7_15 Depth=1
	s_or_b32 exec_lo, exec_lo, s23
	s_waitcnt lgkmcnt(0)
	s_barrier
	buffer_gl0_inv
	s_and_saveexec_b32 s23, s4
	s_cbranch_execz .LBB7_14
; %bb.33:                               ;   in Loop: Header=BB7_15 Depth=1
	s_and_saveexec_b32 s34, s20
	s_cbranch_execz .LBB7_41
; %bb.34:                               ;   in Loop: Header=BB7_15 Depth=1
	s_and_not1_b32 vcc_lo, exec_lo, s29
	s_cbranch_vccnz .LBB7_38
; %bb.35:                               ;   in Loop: Header=BB7_15 Depth=1
	v_dual_mov_b32 v14, v27 :: v_dual_mov_b32 v15, v26
	s_mov_b32 s35, 0
.LBB7_36:                               ;   Parent Loop BB7_15 Depth=1
                                        ; =>  This Inner Loop Header: Depth=2
	ds_load_b128 v[29:32], v15
	ds_load_b128 v[33:36], v14
	ds_load_b128 v[37:40], v14 offset:16
	ds_load_b128 v[41:44], v15 offset:16
	s_add_i32 s35, s35, 8
	s_delay_alu instid0(SALU_CYCLE_1) | instskip(SKIP_3) | instid1(VALU_DEP_2)
	s_cmp_lg_u32 s30, s35
	s_waitcnt lgkmcnt(2)
	v_fmac_f32_e32 v23, v33, v29
	v_fmac_f32_e32 v22, v34, v29
	v_fma_f32 v16, -v34, v30, v23
	s_delay_alu instid0(VALU_DEP_2) | instskip(NEXT) | instid1(VALU_DEP_2)
	v_fmac_f32_e32 v22, v33, v30
	v_fmac_f32_e32 v16, v35, v31
	s_delay_alu instid0(VALU_DEP_2) | instskip(NEXT) | instid1(VALU_DEP_2)
	v_fmac_f32_e32 v22, v36, v31
	v_fma_f32 v16, -v36, v32, v16
	s_delay_alu instid0(VALU_DEP_2)
	v_fmac_f32_e32 v22, v35, v32
	ds_load_b128 v[29:32], v15 offset:32
	ds_load_b128 v[33:36], v14 offset:32
	s_waitcnt lgkmcnt(2)
	v_fmac_f32_e32 v16, v37, v41
	v_fmac_f32_e32 v22, v38, v41
	s_delay_alu instid0(VALU_DEP_2) | instskip(NEXT) | instid1(VALU_DEP_2)
	v_fma_f32 v16, -v38, v42, v16
	v_fmac_f32_e32 v22, v37, v42
	s_delay_alu instid0(VALU_DEP_2) | instskip(NEXT) | instid1(VALU_DEP_2)
	v_fmac_f32_e32 v16, v39, v43
	v_fmac_f32_e32 v22, v40, v43
	s_delay_alu instid0(VALU_DEP_2) | instskip(NEXT) | instid1(VALU_DEP_2)
	v_fma_f32 v16, -v40, v44, v16
	v_fmac_f32_e32 v22, v39, v44
	ds_load_b128 v[37:40], v14 offset:48
	ds_load_b128 v[41:44], v15 offset:48
	v_add_nc_u32_e32 v15, 64, v15
	v_add_nc_u32_e32 v14, 64, v14
	s_waitcnt lgkmcnt(2)
	v_fmac_f32_e32 v16, v33, v29
	v_fmac_f32_e32 v22, v34, v29
	s_delay_alu instid0(VALU_DEP_2) | instskip(NEXT) | instid1(VALU_DEP_2)
	v_fma_f32 v16, -v34, v30, v16
	v_fmac_f32_e32 v22, v33, v30
	s_delay_alu instid0(VALU_DEP_2) | instskip(NEXT) | instid1(VALU_DEP_2)
	v_fmac_f32_e32 v16, v35, v31
	v_fmac_f32_e32 v22, v36, v31
	s_delay_alu instid0(VALU_DEP_2) | instskip(NEXT) | instid1(VALU_DEP_2)
	v_fma_f32 v16, -v36, v32, v16
	v_fmac_f32_e32 v22, v35, v32
	s_waitcnt lgkmcnt(0)
	s_delay_alu instid0(VALU_DEP_2) | instskip(NEXT) | instid1(VALU_DEP_2)
	v_fmac_f32_e32 v16, v37, v41
	v_fmac_f32_e32 v22, v38, v41
	s_delay_alu instid0(VALU_DEP_2) | instskip(NEXT) | instid1(VALU_DEP_2)
	v_fma_f32 v16, -v38, v42, v16
	v_fmac_f32_e32 v22, v37, v42
	s_delay_alu instid0(VALU_DEP_2) | instskip(NEXT) | instid1(VALU_DEP_2)
	v_fmac_f32_e32 v16, v39, v43
	v_fmac_f32_e32 v22, v40, v43
	s_delay_alu instid0(VALU_DEP_2) | instskip(NEXT) | instid1(VALU_DEP_2)
	v_fma_f32 v23, -v40, v44, v16
	v_fmac_f32_e32 v22, v39, v44
	s_cbranch_scc1 .LBB7_36
; %bb.37:                               ;   in Loop: Header=BB7_15 Depth=1
	s_mov_b32 s35, s30
	s_and_not1_b32 vcc_lo, exec_lo, s33
	s_cbranch_vccz .LBB7_39
	s_branch .LBB7_41
.LBB7_38:                               ;   in Loop: Header=BB7_15 Depth=1
	s_mov_b32 s35, 0
	s_and_not1_b32 vcc_lo, exec_lo, s33
	s_cbranch_vccnz .LBB7_41
.LBB7_39:                               ;   in Loop: Header=BB7_15 Depth=1
	s_lshl_b32 s35, s35, 3
	s_delay_alu instid0(SALU_CYCLE_1)
	v_add_nc_u32_e32 v14, s35, v26
	v_add_nc_u32_e32 v15, s35, v27
	s_mov_b32 s35, s28
.LBB7_40:                               ;   Parent Loop BB7_15 Depth=1
                                        ; =>  This Inner Loop Header: Depth=2
	ds_load_b64 v[16:17], v15
	ds_load_b64 v[29:30], v14
	s_add_i32 s35, s35, -1
	v_add_nc_u32_e32 v14, 8, v14
	v_add_nc_u32_e32 v15, 8, v15
	s_cmp_lg_u32 s35, 0
	s_waitcnt lgkmcnt(0)
	v_fmac_f32_e32 v23, v16, v29
	v_fmac_f32_e32 v22, v17, v29
	s_delay_alu instid0(VALU_DEP_2) | instskip(NEXT) | instid1(VALU_DEP_2)
	v_fma_f32 v23, -v17, v30, v23
	v_fmac_f32_e32 v22, v16, v30
	s_cbranch_scc1 .LBB7_40
.LBB7_41:                               ;   in Loop: Header=BB7_15 Depth=1
	s_or_b32 exec_lo, exec_lo, s34
	s_and_saveexec_b32 s34, s27
	s_cbranch_execz .LBB7_13
; %bb.42:                               ;   in Loop: Header=BB7_15 Depth=1
	s_and_not1_b32 vcc_lo, exec_lo, s29
	s_cbranch_vccnz .LBB7_46
; %bb.43:                               ;   in Loop: Header=BB7_15 Depth=1
	v_dual_mov_b32 v14, v27 :: v_dual_mov_b32 v15, v28
	s_mov_b32 s35, 0
.LBB7_44:                               ;   Parent Loop BB7_15 Depth=1
                                        ; =>  This Inner Loop Header: Depth=2
	ds_load_b128 v[29:32], v15
	ds_load_b128 v[33:36], v14
	ds_load_b128 v[37:40], v14 offset:16
	ds_load_b128 v[41:44], v15 offset:16
	s_add_i32 s35, s35, 8
	s_delay_alu instid0(SALU_CYCLE_1) | instskip(SKIP_3) | instid1(VALU_DEP_2)
	s_cmp_lg_u32 s30, s35
	s_waitcnt lgkmcnt(2)
	v_fmac_f32_e32 v3, v33, v29
	v_fmac_f32_e32 v1, v34, v29
	v_fma_f32 v3, -v34, v30, v3
	s_delay_alu instid0(VALU_DEP_2) | instskip(NEXT) | instid1(VALU_DEP_2)
	v_fmac_f32_e32 v1, v33, v30
	v_fmac_f32_e32 v3, v35, v31
	s_delay_alu instid0(VALU_DEP_2) | instskip(NEXT) | instid1(VALU_DEP_2)
	v_fmac_f32_e32 v1, v36, v31
	v_fma_f32 v3, -v36, v32, v3
	s_delay_alu instid0(VALU_DEP_2)
	v_fmac_f32_e32 v1, v35, v32
	ds_load_b128 v[29:32], v15 offset:32
	ds_load_b128 v[33:36], v14 offset:32
	s_waitcnt lgkmcnt(2)
	v_fmac_f32_e32 v3, v37, v41
	v_fmac_f32_e32 v1, v38, v41
	s_delay_alu instid0(VALU_DEP_2) | instskip(NEXT) | instid1(VALU_DEP_2)
	v_fma_f32 v3, -v38, v42, v3
	v_fmac_f32_e32 v1, v37, v42
	s_delay_alu instid0(VALU_DEP_2) | instskip(NEXT) | instid1(VALU_DEP_2)
	v_fmac_f32_e32 v3, v39, v43
	v_fmac_f32_e32 v1, v40, v43
	s_delay_alu instid0(VALU_DEP_2) | instskip(NEXT) | instid1(VALU_DEP_2)
	v_fma_f32 v3, -v40, v44, v3
	v_fmac_f32_e32 v1, v39, v44
	ds_load_b128 v[37:40], v14 offset:48
	ds_load_b128 v[41:44], v15 offset:48
	v_add_nc_u32_e32 v14, 64, v14
	v_add_nc_u32_e32 v15, 64, v15
	s_waitcnt lgkmcnt(2)
	v_fmac_f32_e32 v3, v33, v29
	v_fmac_f32_e32 v1, v34, v29
	s_delay_alu instid0(VALU_DEP_2) | instskip(NEXT) | instid1(VALU_DEP_2)
	v_fma_f32 v3, -v34, v30, v3
	v_fmac_f32_e32 v1, v33, v30
	s_delay_alu instid0(VALU_DEP_2) | instskip(NEXT) | instid1(VALU_DEP_2)
	v_fmac_f32_e32 v3, v35, v31
	v_fmac_f32_e32 v1, v36, v31
	s_delay_alu instid0(VALU_DEP_2) | instskip(NEXT) | instid1(VALU_DEP_2)
	v_fma_f32 v3, -v36, v32, v3
	v_fmac_f32_e32 v1, v35, v32
	s_waitcnt lgkmcnt(0)
	s_delay_alu instid0(VALU_DEP_2) | instskip(NEXT) | instid1(VALU_DEP_2)
	v_fmac_f32_e32 v3, v37, v41
	v_fmac_f32_e32 v1, v38, v41
	s_delay_alu instid0(VALU_DEP_2) | instskip(NEXT) | instid1(VALU_DEP_2)
	v_fma_f32 v3, -v38, v42, v3
	v_fmac_f32_e32 v1, v37, v42
	s_delay_alu instid0(VALU_DEP_2) | instskip(NEXT) | instid1(VALU_DEP_2)
	v_fmac_f32_e32 v3, v39, v43
	v_fmac_f32_e32 v1, v40, v43
	s_delay_alu instid0(VALU_DEP_2) | instskip(NEXT) | instid1(VALU_DEP_2)
	v_fma_f32 v3, -v40, v44, v3
	v_fmac_f32_e32 v1, v39, v44
	s_cbranch_scc1 .LBB7_44
; %bb.45:                               ;   in Loop: Header=BB7_15 Depth=1
	s_mov_b32 s35, s30
	s_and_not1_b32 vcc_lo, exec_lo, s33
	s_cbranch_vccz .LBB7_47
	s_branch .LBB7_13
.LBB7_46:                               ;   in Loop: Header=BB7_15 Depth=1
	s_mov_b32 s35, 0
	s_and_not1_b32 vcc_lo, exec_lo, s33
	s_cbranch_vccnz .LBB7_13
.LBB7_47:                               ;   in Loop: Header=BB7_15 Depth=1
	s_lshl_b32 s35, s35, 3
	s_delay_alu instid0(SALU_CYCLE_1)
	v_add_nc_u32_e32 v14, s35, v28
	v_add_nc_u32_e32 v15, s35, v27
	s_mov_b32 s35, s28
.LBB7_48:                               ;   Parent Loop BB7_15 Depth=1
                                        ; =>  This Inner Loop Header: Depth=2
	ds_load_b64 v[16:17], v15
	ds_load_b64 v[29:30], v14
	v_add_nc_u32_e32 v15, 8, v15
	s_add_i32 s35, s35, -1
	v_add_nc_u32_e32 v14, 8, v14
	s_cmp_lg_u32 s35, 0
	s_waitcnt lgkmcnt(0)
	v_fmac_f32_e32 v3, v16, v29
	v_fmac_f32_e32 v1, v17, v29
	s_delay_alu instid0(VALU_DEP_2) | instskip(NEXT) | instid1(VALU_DEP_2)
	v_fma_f32 v3, -v17, v30, v3
	v_fmac_f32_e32 v1, v16, v30
	s_cbranch_scc1 .LBB7_48
	s_branch .LBB7_13
.LBB7_49:
	v_dual_mov_b32 v2, s2 :: v_dual_mov_b32 v3, s3
	flat_load_b32 v19, v[2:3] offset:4
	v_cmp_ne_u32_e32 vcc_lo, 1, v1
	s_waitcnt lgkmcnt(0)
	v_mov_b32_e32 v20, s10
	s_cbranch_vccnz .LBB7_4
.LBB7_50:
	v_dual_mov_b32 v2, s10 :: v_dual_mov_b32 v3, s11
	flat_load_b32 v20, v[2:3]
	v_cmp_ne_u32_e32 vcc_lo, 1, v1
	v_mov_b32_e32 v21, s11
	s_cbranch_vccz .LBB7_5
	s_branch .LBB7_6
.LBB7_51:
	s_delay_alu instid0(VALU_DEP_1) | instskip(NEXT) | instid1(SALU_CYCLE_1)
	s_and_b32 s4, s7, s4
	s_and_b32 exec_lo, exec_lo, s4
	s_cbranch_execz .LBB7_62
; %bb.52:
	v_mad_u64_u32 v[5:6], null, s14, s12, v[4:5]
	s_load_b64 s[4:5], s[0:1], 0x58
	v_cmp_neq_f32_e32 vcc_lo, 0, v20
	v_cmp_neq_f32_e64 s0, 0, v21
	s_delay_alu instid0(VALU_DEP_3) | instskip(NEXT) | instid1(VALU_DEP_2)
	v_ashrrev_i32_e32 v6, 31, v5
	s_or_b32 s0, vcc_lo, s0
	s_delay_alu instid0(VALU_DEP_1) | instskip(NEXT) | instid1(VALU_DEP_1)
	v_lshlrev_b64 v[4:5], 3, v[5:6]
	v_add_co_u32 v4, s1, s10, v4
	s_delay_alu instid0(VALU_DEP_1)
	v_add_co_ci_u32_e64 v5, s1, s11, v5, s1
	s_and_saveexec_b32 s1, s3
	s_cbranch_execz .LBB7_57
; %bb.53:
	s_and_saveexec_b32 s3, s0
	s_delay_alu instid0(SALU_CYCLE_1)
	s_xor_b32 s3, exec_lo, s3
	s_cbranch_execz .LBB7_55
; %bb.54:
	v_ashrrev_i32_e32 v8, 31, v2
	s_waitcnt lgkmcnt(0)
	v_mul_lo_u32 v9, v2, s5
	v_mad_u64_u32 v[6:7], null, v2, s4, 0
	s_delay_alu instid0(VALU_DEP_3) | instskip(NEXT) | instid1(VALU_DEP_1)
	v_mul_lo_u32 v2, v8, s4
	v_add3_u32 v7, v7, v9, v2
	v_mul_f32_e64 v2, v22, -v19
	s_delay_alu instid0(VALU_DEP_2) | instskip(NEXT) | instid1(VALU_DEP_1)
	v_lshlrev_b64 v[6:7], 3, v[6:7]
	v_add_co_u32 v6, vcc_lo, v4, v6
	s_delay_alu instid0(VALU_DEP_2) | instskip(SKIP_4) | instid1(VALU_DEP_1)
	v_add_co_ci_u32_e32 v7, vcc_lo, v5, v7, vcc_lo
	global_load_b64 v[8:9], v[6:7], off
	v_fmac_f32_e32 v2, v18, v23
	v_mul_f32_e32 v11, v22, v18
                                        ; implicit-def: $vgpr22
	s_waitcnt vmcnt(0)
	v_dual_fmac_f32 v2, v20, v8 :: v_dual_fmac_f32 v11, v19, v23
                                        ; implicit-def: $vgpr23
	s_delay_alu instid0(VALU_DEP_1) | instskip(NEXT) | instid1(VALU_DEP_2)
	v_fma_f32 v10, -v21, v9, v2
	v_fmac_f32_e32 v11, v21, v8
                                        ; implicit-def: $vgpr2
	s_delay_alu instid0(VALU_DEP_1)
	v_fmac_f32_e32 v11, v20, v9
	global_store_b64 v[6:7], v[10:11], off
.LBB7_55:
	s_and_not1_saveexec_b32 s3, s3
	s_cbranch_execz .LBB7_57
; %bb.56:
	v_ashrrev_i32_e32 v8, 31, v2
	s_waitcnt lgkmcnt(0)
	v_mul_lo_u32 v9, v2, s5
	v_mad_u64_u32 v[6:7], null, v2, s4, 0
	s_delay_alu instid0(VALU_DEP_3) | instskip(SKIP_1) | instid1(VALU_DEP_1)
	v_mul_lo_u32 v2, v8, s4
	v_mul_f32_e64 v8, v22, -v19
	v_fmac_f32_e32 v8, v18, v23
	s_delay_alu instid0(VALU_DEP_3) | instskip(SKIP_1) | instid1(VALU_DEP_2)
	v_add3_u32 v7, v7, v9, v2
	v_mul_f32_e32 v9, v22, v18
	v_lshlrev_b64 v[6:7], 3, v[6:7]
	s_delay_alu instid0(VALU_DEP_2) | instskip(NEXT) | instid1(VALU_DEP_2)
	v_fmac_f32_e32 v9, v19, v23
	v_add_co_u32 v6, vcc_lo, v4, v6
	s_delay_alu instid0(VALU_DEP_3)
	v_add_co_ci_u32_e32 v7, vcc_lo, v5, v7, vcc_lo
	global_store_b64 v[6:7], v[8:9], off
.LBB7_57:
	s_or_b32 exec_lo, exec_lo, s1
	s_delay_alu instid0(SALU_CYCLE_1)
	s_and_b32 exec_lo, exec_lo, s2
	s_cbranch_execz .LBB7_62
; %bb.58:
	s_and_saveexec_b32 s1, s0
	s_delay_alu instid0(SALU_CYCLE_1)
	s_xor_b32 s0, exec_lo, s1
	s_cbranch_execz .LBB7_60
; %bb.59:
	v_ashrrev_i32_e32 v2, 31, v0
	s_waitcnt lgkmcnt(0)
	v_mul_lo_u32 v8, v0, s5
	v_mad_u64_u32 v[6:7], null, v0, s4, 0
	s_delay_alu instid0(VALU_DEP_3) | instskip(NEXT) | instid1(VALU_DEP_1)
	v_mul_lo_u32 v0, v2, s4
	v_add3_u32 v7, v7, v8, v0
	v_mul_f32_e64 v0, v1, -v19
	v_mul_f32_e32 v1, v1, v18
	s_delay_alu instid0(VALU_DEP_3) | instskip(NEXT) | instid1(VALU_DEP_3)
	v_lshlrev_b64 v[6:7], 3, v[6:7]
	v_fmac_f32_e32 v0, v18, v3
                                        ; implicit-def: $vgpr18
	s_delay_alu instid0(VALU_DEP_2) | instskip(NEXT) | instid1(VALU_DEP_3)
	v_add_co_u32 v4, vcc_lo, v4, v6
	v_add_co_ci_u32_e32 v5, vcc_lo, v5, v7, vcc_lo
	global_load_b64 v[6:7], v[4:5], off
	v_fmac_f32_e32 v1, v19, v3
                                        ; implicit-def: $vgpr19
                                        ; implicit-def: $vgpr3
	s_waitcnt vmcnt(0)
	v_fmac_f32_e32 v0, v20, v6
	s_delay_alu instid0(VALU_DEP_2) | instskip(NEXT) | instid1(VALU_DEP_2)
	v_fmac_f32_e32 v1, v21, v6
	v_fma_f32 v0, -v21, v7, v0
	s_delay_alu instid0(VALU_DEP_2)
	v_fmac_f32_e32 v1, v20, v7
	global_store_b64 v[4:5], v[0:1], off
                                        ; implicit-def: $vgpr1
                                        ; implicit-def: $vgpr0
                                        ; implicit-def: $vgpr4
                                        ; implicit-def: $vgpr5
.LBB7_60:
	s_and_not1_saveexec_b32 s0, s0
	s_cbranch_execz .LBB7_62
; %bb.61:
	v_ashrrev_i32_e32 v2, 31, v0
	s_waitcnt lgkmcnt(0)
	v_mul_lo_u32 v8, v0, s5
	v_mad_u64_u32 v[6:7], null, v0, s4, 0
	s_delay_alu instid0(VALU_DEP_3) | instskip(NEXT) | instid1(VALU_DEP_1)
	v_mul_lo_u32 v0, v2, s4
	v_add3_u32 v7, v7, v8, v0
	v_mul_f32_e64 v0, v1, -v19
	v_mul_f32_e32 v1, v1, v18
	s_delay_alu instid0(VALU_DEP_3) | instskip(NEXT) | instid1(VALU_DEP_3)
	v_lshlrev_b64 v[6:7], 3, v[6:7]
	v_fmac_f32_e32 v0, v18, v3
	s_delay_alu instid0(VALU_DEP_3) | instskip(NEXT) | instid1(VALU_DEP_3)
	v_fmac_f32_e32 v1, v19, v3
	v_add_co_u32 v2, vcc_lo, v4, v6
	s_delay_alu instid0(VALU_DEP_4)
	v_add_co_ci_u32_e32 v3, vcc_lo, v5, v7, vcc_lo
	global_store_b64 v[2:3], v[0:1], off
.LBB7_62:
	s_nop 0
	s_sendmsg sendmsg(MSG_DEALLOC_VGPRS)
	s_endpgm
	.section	.rodata,"a",@progbits
	.p2align	6, 0x0
	.amdhsa_kernel _ZN9rocsparseL33gebsrmm_large_blockdim_kernel_extILi16ELi16ELi2E21rocsparse_complex_numIfEEEv20rocsparse_direction_20rocsparse_operation_iiNS_24const_host_device_scalarIT2_EEPKiS9_PKS6_iiSB_lS7_PS6_l21rocsparse_index_base_b
		.amdhsa_group_segment_fixed_size 6144
		.amdhsa_private_segment_fixed_size 0
		.amdhsa_kernarg_size 104
		.amdhsa_user_sgpr_count 14
		.amdhsa_user_sgpr_dispatch_ptr 0
		.amdhsa_user_sgpr_queue_ptr 0
		.amdhsa_user_sgpr_kernarg_segment_ptr 1
		.amdhsa_user_sgpr_dispatch_id 0
		.amdhsa_user_sgpr_private_segment_size 0
		.amdhsa_wavefront_size32 1
		.amdhsa_uses_dynamic_stack 0
		.amdhsa_enable_private_segment 0
		.amdhsa_system_sgpr_workgroup_id_x 1
		.amdhsa_system_sgpr_workgroup_id_y 1
		.amdhsa_system_sgpr_workgroup_id_z 0
		.amdhsa_system_sgpr_workgroup_info 0
		.amdhsa_system_vgpr_workitem_id 1
		.amdhsa_next_free_vgpr 45
		.amdhsa_next_free_sgpr 38
		.amdhsa_reserve_vcc 1
		.amdhsa_float_round_mode_32 0
		.amdhsa_float_round_mode_16_64 0
		.amdhsa_float_denorm_mode_32 3
		.amdhsa_float_denorm_mode_16_64 3
		.amdhsa_dx10_clamp 1
		.amdhsa_ieee_mode 1
		.amdhsa_fp16_overflow 0
		.amdhsa_workgroup_processor_mode 1
		.amdhsa_memory_ordered 1
		.amdhsa_forward_progress 0
		.amdhsa_shared_vgpr_count 0
		.amdhsa_exception_fp_ieee_invalid_op 0
		.amdhsa_exception_fp_denorm_src 0
		.amdhsa_exception_fp_ieee_div_zero 0
		.amdhsa_exception_fp_ieee_overflow 0
		.amdhsa_exception_fp_ieee_underflow 0
		.amdhsa_exception_fp_ieee_inexact 0
		.amdhsa_exception_int_div_zero 0
	.end_amdhsa_kernel
	.section	.text._ZN9rocsparseL33gebsrmm_large_blockdim_kernel_extILi16ELi16ELi2E21rocsparse_complex_numIfEEEv20rocsparse_direction_20rocsparse_operation_iiNS_24const_host_device_scalarIT2_EEPKiS9_PKS6_iiSB_lS7_PS6_l21rocsparse_index_base_b,"axG",@progbits,_ZN9rocsparseL33gebsrmm_large_blockdim_kernel_extILi16ELi16ELi2E21rocsparse_complex_numIfEEEv20rocsparse_direction_20rocsparse_operation_iiNS_24const_host_device_scalarIT2_EEPKiS9_PKS6_iiSB_lS7_PS6_l21rocsparse_index_base_b,comdat
.Lfunc_end7:
	.size	_ZN9rocsparseL33gebsrmm_large_blockdim_kernel_extILi16ELi16ELi2E21rocsparse_complex_numIfEEEv20rocsparse_direction_20rocsparse_operation_iiNS_24const_host_device_scalarIT2_EEPKiS9_PKS6_iiSB_lS7_PS6_l21rocsparse_index_base_b, .Lfunc_end7-_ZN9rocsparseL33gebsrmm_large_blockdim_kernel_extILi16ELi16ELi2E21rocsparse_complex_numIfEEEv20rocsparse_direction_20rocsparse_operation_iiNS_24const_host_device_scalarIT2_EEPKiS9_PKS6_iiSB_lS7_PS6_l21rocsparse_index_base_b
                                        ; -- End function
	.section	.AMDGPU.csdata,"",@progbits
; Kernel info:
; codeLenInByte = 2888
; NumSgprs: 40
; NumVgprs: 45
; ScratchSize: 0
; MemoryBound: 0
; FloatMode: 240
; IeeeMode: 1
; LDSByteSize: 6144 bytes/workgroup (compile time only)
; SGPRBlocks: 4
; VGPRBlocks: 5
; NumSGPRsForWavesPerEU: 40
; NumVGPRsForWavesPerEU: 45
; Occupancy: 16
; WaveLimiterHint : 1
; COMPUTE_PGM_RSRC2:SCRATCH_EN: 0
; COMPUTE_PGM_RSRC2:USER_SGPR: 14
; COMPUTE_PGM_RSRC2:TRAP_HANDLER: 0
; COMPUTE_PGM_RSRC2:TGID_X_EN: 1
; COMPUTE_PGM_RSRC2:TGID_Y_EN: 1
; COMPUTE_PGM_RSRC2:TGID_Z_EN: 0
; COMPUTE_PGM_RSRC2:TIDIG_COMP_CNT: 1
	.section	.text._ZN9rocsparseL33gebsrmm_large_blockdim_kernel_extILi32ELi32ELi2E21rocsparse_complex_numIfEEEv20rocsparse_direction_20rocsparse_operation_iiNS_24const_host_device_scalarIT2_EEPKiS9_PKS6_iiSB_lS7_PS6_l21rocsparse_index_base_b,"axG",@progbits,_ZN9rocsparseL33gebsrmm_large_blockdim_kernel_extILi32ELi32ELi2E21rocsparse_complex_numIfEEEv20rocsparse_direction_20rocsparse_operation_iiNS_24const_host_device_scalarIT2_EEPKiS9_PKS6_iiSB_lS7_PS6_l21rocsparse_index_base_b,comdat
	.globl	_ZN9rocsparseL33gebsrmm_large_blockdim_kernel_extILi32ELi32ELi2E21rocsparse_complex_numIfEEEv20rocsparse_direction_20rocsparse_operation_iiNS_24const_host_device_scalarIT2_EEPKiS9_PKS6_iiSB_lS7_PS6_l21rocsparse_index_base_b ; -- Begin function _ZN9rocsparseL33gebsrmm_large_blockdim_kernel_extILi32ELi32ELi2E21rocsparse_complex_numIfEEEv20rocsparse_direction_20rocsparse_operation_iiNS_24const_host_device_scalarIT2_EEPKiS9_PKS6_iiSB_lS7_PS6_l21rocsparse_index_base_b
	.p2align	8
	.type	_ZN9rocsparseL33gebsrmm_large_blockdim_kernel_extILi32ELi32ELi2E21rocsparse_complex_numIfEEEv20rocsparse_direction_20rocsparse_operation_iiNS_24const_host_device_scalarIT2_EEPKiS9_PKS6_iiSB_lS7_PS6_l21rocsparse_index_base_b,@function
_ZN9rocsparseL33gebsrmm_large_blockdim_kernel_extILi32ELi32ELi2E21rocsparse_complex_numIfEEEv20rocsparse_direction_20rocsparse_operation_iiNS_24const_host_device_scalarIT2_EEPKiS9_PKS6_iiSB_lS7_PS6_l21rocsparse_index_base_b: ; @_ZN9rocsparseL33gebsrmm_large_blockdim_kernel_extILi32ELi32ELi2E21rocsparse_complex_numIfEEEv20rocsparse_direction_20rocsparse_operation_iiNS_24const_host_device_scalarIT2_EEPKiS9_PKS6_iiSB_lS7_PS6_l21rocsparse_index_base_b
; %bb.0:
	s_clause 0x1
	s_load_b64 s[6:7], s[0:1], 0x60
	s_load_b64 s[2:3], s[0:1], 0x10
	s_waitcnt lgkmcnt(0)
	s_bitcmp1_b32 s7, 0
	v_mov_b32_e32 v18, s2
	s_cselect_b32 s4, -1, 0
	s_delay_alu instid0(SALU_CYCLE_1)
	s_and_b32 vcc_lo, exec_lo, s4
	s_xor_b32 s4, s4, -1
	s_cbranch_vccnz .LBB8_2
; %bb.1:
	v_dual_mov_b32 v1, s2 :: v_dual_mov_b32 v2, s3
	flat_load_b32 v18, v[1:2]
.LBB8_2:
	s_load_b128 s[8:11], s[0:1], 0x40
	v_cndmask_b32_e64 v1, 0, 1, s4
	v_mov_b32_e32 v19, s3
	s_and_not1_b32 vcc_lo, exec_lo, s4
	s_cbranch_vccz .LBB8_49
; %bb.3:
	s_delay_alu instid0(VALU_DEP_2)
	v_cmp_ne_u32_e32 vcc_lo, 1, v1
	s_waitcnt lgkmcnt(0)
	v_mov_b32_e32 v20, s10
	s_cbranch_vccz .LBB8_50
.LBB8_4:
	v_cmp_ne_u32_e32 vcc_lo, 1, v1
	v_mov_b32_e32 v21, s11
	s_cbranch_vccnz .LBB8_6
.LBB8_5:
	v_dual_mov_b32 v1, s10 :: v_dual_mov_b32 v2, s11
	flat_load_b32 v21, v[1:2] offset:4
.LBB8_6:
	s_waitcnt vmcnt(0)
	v_cmp_eq_f32_e32 vcc_lo, 0, v18
	v_cmp_eq_f32_e64 s2, 0, v19
	s_delay_alu instid0(VALU_DEP_1)
	s_and_b32 s4, vcc_lo, s2
	s_mov_b32 s2, -1
	s_and_saveexec_b32 s3, s4
	s_cbranch_execz .LBB8_8
; %bb.7:
	s_waitcnt lgkmcnt(0)
	v_cmp_neq_f32_e32 vcc_lo, 1.0, v20
	v_cmp_neq_f32_e64 s2, 0, v21
	s_delay_alu instid0(VALU_DEP_1) | instskip(NEXT) | instid1(SALU_CYCLE_1)
	s_or_b32 s2, vcc_lo, s2
	s_or_not1_b32 s2, s2, exec_lo
.LBB8_8:
	s_or_b32 exec_lo, exec_lo, s3
	s_and_saveexec_b32 s3, s2
	s_cbranch_execz .LBB8_62
; %bb.9:
	s_load_b128 s[20:23], s[0:1], 0x0
	s_mov_b32 s26, 0
	s_waitcnt lgkmcnt(0)
	s_cmp_lt_i32 s14, s22
	s_cselect_b32 s7, -1, 0
	s_cmp_ge_i32 s14, s22
	s_mov_b32 s22, 0
	s_cbranch_scc1 .LBB8_11
; %bb.10:
	s_load_b64 s[4:5], s[0:1], 0x18
	s_mov_b32 s2, s15
	s_ashr_i32 s15, s14, 31
	s_delay_alu instid0(SALU_CYCLE_1)
	s_lshl_b64 s[10:11], s[14:15], 2
	s_mov_b32 s15, s2
	s_waitcnt lgkmcnt(0)
	s_add_u32 s2, s4, s10
	s_addc_u32 s3, s5, s11
	s_load_b64 s[2:3], s[2:3], 0x0
	s_waitcnt lgkmcnt(0)
	s_sub_i32 s22, s2, s6
	s_sub_i32 s26, s3, s6
.LBB8_11:
	s_clause 0x1
	s_load_b64 s[12:13], s[0:1], 0x30
	s_load_b64 s[10:11], s[0:1], 0x50
	v_bfe_u32 v5, v0, 10, 10
	v_dual_mov_b32 v1, 0 :: v_dual_and_b32 v4, 0x3ff, v0
	v_dual_mov_b32 v22, 0 :: v_dual_mov_b32 v23, 0
	s_delay_alu instid0(VALU_DEP_3) | instskip(SKIP_1) | instid1(VALU_DEP_1)
	v_lshl_add_u32 v2, s15, 6, v5
	s_cmp_ge_i32 s22, s26
	v_dual_mov_b32 v3, 0 :: v_dual_add_nc_u32 v0, 32, v2
	v_cmp_gt_i32_e64 s3, s23, v2
	s_delay_alu instid0(VALU_DEP_2)
	v_cmp_gt_i32_e64 s2, s23, v0
	s_waitcnt lgkmcnt(0)
	v_cmp_gt_i32_e64 s4, s12, v4
	s_cbranch_scc1 .LBB8_51
; %bb.12:
	v_ashrrev_i32_e32 v3, 31, v2
	v_ashrrev_i32_e32 v1, 31, v0
	v_cmp_gt_i32_e32 vcc_lo, s13, v5
	v_mad_u64_u32 v[6:7], null, v5, s12, v[4:5]
	s_clause 0x1
	s_load_b128 s[16:19], s[0:1], 0x20
	s_load_b64 s[24:25], s[0:1], 0x38
	v_mul_lo_u32 v15, v2, s9
	v_mul_lo_u32 v16, v3, s8
	v_mad_u64_u32 v[10:11], null, v2, s8, 0
	v_mul_lo_u32 v17, v0, s9
	v_mul_lo_u32 v22, v1, s8
	v_mad_u64_u32 v[12:13], null, v0, s8, 0
	s_and_b32 s15, s4, vcc_lo
	s_cmpk_lg_i32 s21, 0x6f
	v_mad_u64_u32 v[7:8], null, v4, s13, v[5:6]
	s_cselect_b32 s21, -1, 0
	s_cmp_eq_u32 s20, 0
	v_lshlrev_b32_e32 v9, 5, v5
	s_cselect_b32 vcc_lo, -1, 0
	s_cmp_gt_i32 s13, 0
	v_add3_u32 v11, v11, v15, v16
	v_add3_u32 v13, v13, v17, v22
	v_mov_b32_e32 v22, 0
	v_lshl_add_u32 v14, v4, 5, v5
	s_cselect_b32 s23, -1, 0
	v_dual_cndmask_b32 v5, v6, v7 :: v_dual_lshlrev_b32 v26, 8, v5
	s_and_b32 s20, s3, s23
	s_and_b32 s27, s2, s23
	;; [unrolled: 1-line block ×3, first 2 shown]
	s_cmp_gt_u32 s13, 7
	v_add_lshl_u32 v25, v9, v4, 3
	v_lshlrev_b64 v[6:7], 3, v[2:3]
	v_lshlrev_b64 v[8:9], 3, v[0:1]
	;; [unrolled: 1-line block ×4, first 2 shown]
	v_cmp_gt_i32_e64 s5, s13, v4
	v_lshl_add_u32 v24, v14, 3, 0x4000
	s_cselect_b32 s29, -1, 0
	s_and_b32 s30, s13, 0x7ffffff8
	v_lshl_add_u32 v27, v4, 8, 0x4000
	v_dual_mov_b32 v23, 0 :: v_dual_add_nc_u32 v28, 0x2000, v26
	v_mov_b32_e32 v3, 0
	v_mov_b32_e32 v1, 0
	s_cmp_lg_u32 s28, 0
	s_mul_i32 s31, s13, s12
	s_cselect_b32 s33, -1, 0
	s_branch .LBB8_15
.LBB8_13:                               ;   in Loop: Header=BB8_15 Depth=1
	s_or_b32 exec_lo, exec_lo, s34
.LBB8_14:                               ;   in Loop: Header=BB8_15 Depth=1
	s_delay_alu instid0(SALU_CYCLE_1) | instskip(SKIP_1) | instid1(SALU_CYCLE_1)
	s_or_b32 exec_lo, exec_lo, s23
	s_add_i32 s22, s22, 1
	s_cmp_ge_i32 s22, s26
	s_barrier
	buffer_gl0_inv
	s_cbranch_scc1 .LBB8_51
.LBB8_15:                               ; =>This Loop Header: Depth=1
                                        ;     Child Loop BB8_36 Depth 2
                                        ;     Child Loop BB8_40 Depth 2
	;; [unrolled: 1-line block ×4, first 2 shown]
	s_and_saveexec_b32 s34, s5
	s_cbranch_execz .LBB8_30
; %bb.16:                               ;   in Loop: Header=BB8_15 Depth=1
	s_ashr_i32 s23, s22, 31
	s_delay_alu instid0(SALU_CYCLE_1)
	s_lshl_b64 s[36:37], s[22:23], 2
	s_waitcnt lgkmcnt(0)
	s_add_u32 s36, s16, s36
	s_addc_u32 s37, s17, s37
	s_and_not1_b32 vcc_lo, exec_lo, s21
	s_load_b32 s23, s[36:37], 0x0
	s_waitcnt lgkmcnt(0)
	s_sub_i32 s23, s23, s6
	s_delay_alu instid0(SALU_CYCLE_1) | instskip(NEXT) | instid1(VALU_DEP_1)
	v_mad_u64_u32 v[14:15], null, s23, s13, v[4:5]
	v_ashrrev_i32_e32 v15, 31, v14
	s_cbranch_vccnz .LBB8_22
; %bb.17:                               ;   in Loop: Header=BB8_15 Depth=1
	s_delay_alu instid0(VALU_DEP_1) | instskip(SKIP_2) | instid1(VALU_DEP_1)
	v_mul_lo_u32 v29, v15, s8
	v_mul_lo_u32 v30, v14, s9
	v_mad_u64_u32 v[16:17], null, v14, s8, 0
	v_add3_u32 v17, v17, v30, v29
	s_delay_alu instid0(VALU_DEP_1) | instskip(NEXT) | instid1(VALU_DEP_1)
	v_lshlrev_b64 v[16:17], 3, v[16:17]
	v_add_co_u32 v29, vcc_lo, s24, v16
	s_delay_alu instid0(VALU_DEP_2)
	v_add_co_ci_u32_e32 v30, vcc_lo, s25, v17, vcc_lo
	s_and_saveexec_b32 s23, s3
	s_cbranch_execz .LBB8_19
; %bb.18:                               ;   in Loop: Header=BB8_15 Depth=1
	s_delay_alu instid0(VALU_DEP_2) | instskip(NEXT) | instid1(VALU_DEP_2)
	v_add_co_u32 v16, vcc_lo, v29, v6
	v_add_co_ci_u32_e32 v17, vcc_lo, v30, v7, vcc_lo
	global_load_b64 v[16:17], v[16:17], off
	s_waitcnt vmcnt(0)
	ds_store_b64 v25, v[16:17]
.LBB8_19:                               ;   in Loop: Header=BB8_15 Depth=1
	s_or_b32 exec_lo, exec_lo, s23
	s_mov_b32 s35, 0
	s_mov_b32 s23, 0
                                        ; implicit-def: $vgpr16_vgpr17
	s_and_saveexec_b32 s36, s2
	s_delay_alu instid0(SALU_CYCLE_1)
	s_xor_b32 s36, exec_lo, s36
; %bb.20:                               ;   in Loop: Header=BB8_15 Depth=1
	v_add_co_u32 v16, vcc_lo, v29, v8
	v_add_co_ci_u32_e32 v17, vcc_lo, v30, v9, vcc_lo
	s_mov_b32 s23, exec_lo
; %bb.21:                               ;   in Loop: Header=BB8_15 Depth=1
	s_or_b32 exec_lo, exec_lo, s36
	s_delay_alu instid0(SALU_CYCLE_1)
	s_and_b32 vcc_lo, exec_lo, s35
	s_cbranch_vccnz .LBB8_23
	s_branch .LBB8_28
.LBB8_22:                               ;   in Loop: Header=BB8_15 Depth=1
	s_mov_b32 s23, 0
                                        ; implicit-def: $vgpr16_vgpr17
	s_cbranch_execz .LBB8_28
.LBB8_23:                               ;   in Loop: Header=BB8_15 Depth=1
	s_delay_alu instid0(VALU_DEP_1) | instskip(NEXT) | instid1(VALU_DEP_1)
	v_lshlrev_b64 v[14:15], 3, v[14:15]
	v_add_co_u32 v14, vcc_lo, s24, v14
	s_delay_alu instid0(VALU_DEP_2)
	v_add_co_ci_u32_e32 v15, vcc_lo, s25, v15, vcc_lo
	s_and_saveexec_b32 s35, s3
	s_cbranch_execz .LBB8_25
; %bb.24:                               ;   in Loop: Header=BB8_15 Depth=1
	s_delay_alu instid0(VALU_DEP_2) | instskip(NEXT) | instid1(VALU_DEP_2)
	v_add_co_u32 v16, vcc_lo, v14, v10
	v_add_co_ci_u32_e32 v17, vcc_lo, v15, v11, vcc_lo
	global_load_b64 v[16:17], v[16:17], off
	s_waitcnt vmcnt(0)
	ds_store_b64 v25, v[16:17]
.LBB8_25:                               ;   in Loop: Header=BB8_15 Depth=1
	s_or_b32 exec_lo, exec_lo, s35
                                        ; implicit-def: $vgpr16_vgpr17
	s_and_saveexec_b32 s35, s2
; %bb.26:                               ;   in Loop: Header=BB8_15 Depth=1
	v_add_co_u32 v16, vcc_lo, v14, v12
	v_add_co_ci_u32_e32 v17, vcc_lo, v15, v13, vcc_lo
	s_or_b32 s23, s23, exec_lo
; %bb.27:                               ;   in Loop: Header=BB8_15 Depth=1
	s_or_b32 exec_lo, exec_lo, s35
.LBB8_28:                               ;   in Loop: Header=BB8_15 Depth=1
	s_delay_alu instid0(SALU_CYCLE_1)
	s_and_b32 exec_lo, exec_lo, s23
	s_cbranch_execz .LBB8_30
; %bb.29:                               ;   in Loop: Header=BB8_15 Depth=1
	global_load_b64 v[14:15], v[16:17], off
	s_waitcnt vmcnt(0)
	ds_store_b64 v25, v[14:15] offset:8192
.LBB8_30:                               ;   in Loop: Header=BB8_15 Depth=1
	s_or_b32 exec_lo, exec_lo, s34
	s_and_saveexec_b32 s23, s15
	s_cbranch_execz .LBB8_32
; %bb.31:                               ;   in Loop: Header=BB8_15 Depth=1
	v_mad_u64_u32 v[14:15], null, s31, s22, v[5:6]
	s_delay_alu instid0(VALU_DEP_1) | instskip(NEXT) | instid1(VALU_DEP_1)
	v_ashrrev_i32_e32 v15, 31, v14
	v_lshlrev_b64 v[14:15], 3, v[14:15]
	s_waitcnt lgkmcnt(0)
	s_delay_alu instid0(VALU_DEP_1) | instskip(NEXT) | instid1(VALU_DEP_2)
	v_add_co_u32 v14, vcc_lo, s18, v14
	v_add_co_ci_u32_e32 v15, vcc_lo, s19, v15, vcc_lo
	global_load_b64 v[14:15], v[14:15], off
	s_waitcnt vmcnt(0)
	ds_store_b64 v24, v[14:15]
.LBB8_32:                               ;   in Loop: Header=BB8_15 Depth=1
	s_or_b32 exec_lo, exec_lo, s23
	s_waitcnt lgkmcnt(0)
	s_barrier
	buffer_gl0_inv
	s_and_saveexec_b32 s23, s4
	s_cbranch_execz .LBB8_14
; %bb.33:                               ;   in Loop: Header=BB8_15 Depth=1
	s_and_saveexec_b32 s34, s20
	s_cbranch_execz .LBB8_41
; %bb.34:                               ;   in Loop: Header=BB8_15 Depth=1
	s_and_not1_b32 vcc_lo, exec_lo, s29
	s_cbranch_vccnz .LBB8_38
; %bb.35:                               ;   in Loop: Header=BB8_15 Depth=1
	v_dual_mov_b32 v14, v27 :: v_dual_mov_b32 v15, v26
	s_mov_b32 s35, 0
.LBB8_36:                               ;   Parent Loop BB8_15 Depth=1
                                        ; =>  This Inner Loop Header: Depth=2
	ds_load_b128 v[29:32], v15
	ds_load_b128 v[33:36], v14
	ds_load_b128 v[37:40], v14 offset:16
	ds_load_b128 v[41:44], v15 offset:16
	s_add_i32 s35, s35, 8
	s_delay_alu instid0(SALU_CYCLE_1) | instskip(SKIP_3) | instid1(VALU_DEP_2)
	s_cmp_lg_u32 s30, s35
	s_waitcnt lgkmcnt(2)
	v_fmac_f32_e32 v23, v33, v29
	v_fmac_f32_e32 v22, v34, v29
	v_fma_f32 v16, -v34, v30, v23
	s_delay_alu instid0(VALU_DEP_2) | instskip(NEXT) | instid1(VALU_DEP_2)
	v_fmac_f32_e32 v22, v33, v30
	v_fmac_f32_e32 v16, v35, v31
	s_delay_alu instid0(VALU_DEP_2) | instskip(NEXT) | instid1(VALU_DEP_2)
	v_fmac_f32_e32 v22, v36, v31
	v_fma_f32 v16, -v36, v32, v16
	s_delay_alu instid0(VALU_DEP_2)
	v_fmac_f32_e32 v22, v35, v32
	ds_load_b128 v[29:32], v15 offset:32
	ds_load_b128 v[33:36], v14 offset:32
	s_waitcnt lgkmcnt(2)
	v_fmac_f32_e32 v16, v37, v41
	v_fmac_f32_e32 v22, v38, v41
	s_delay_alu instid0(VALU_DEP_2) | instskip(NEXT) | instid1(VALU_DEP_2)
	v_fma_f32 v16, -v38, v42, v16
	v_fmac_f32_e32 v22, v37, v42
	s_delay_alu instid0(VALU_DEP_2) | instskip(NEXT) | instid1(VALU_DEP_2)
	v_fmac_f32_e32 v16, v39, v43
	v_fmac_f32_e32 v22, v40, v43
	s_delay_alu instid0(VALU_DEP_2) | instskip(NEXT) | instid1(VALU_DEP_2)
	v_fma_f32 v16, -v40, v44, v16
	v_fmac_f32_e32 v22, v39, v44
	ds_load_b128 v[37:40], v14 offset:48
	ds_load_b128 v[41:44], v15 offset:48
	v_add_nc_u32_e32 v15, 64, v15
	v_add_nc_u32_e32 v14, 64, v14
	s_waitcnt lgkmcnt(2)
	v_fmac_f32_e32 v16, v33, v29
	v_fmac_f32_e32 v22, v34, v29
	s_delay_alu instid0(VALU_DEP_2) | instskip(NEXT) | instid1(VALU_DEP_2)
	v_fma_f32 v16, -v34, v30, v16
	v_fmac_f32_e32 v22, v33, v30
	s_delay_alu instid0(VALU_DEP_2) | instskip(NEXT) | instid1(VALU_DEP_2)
	v_fmac_f32_e32 v16, v35, v31
	v_fmac_f32_e32 v22, v36, v31
	s_delay_alu instid0(VALU_DEP_2) | instskip(NEXT) | instid1(VALU_DEP_2)
	v_fma_f32 v16, -v36, v32, v16
	v_fmac_f32_e32 v22, v35, v32
	s_waitcnt lgkmcnt(0)
	s_delay_alu instid0(VALU_DEP_2) | instskip(NEXT) | instid1(VALU_DEP_2)
	v_fmac_f32_e32 v16, v37, v41
	v_fmac_f32_e32 v22, v38, v41
	s_delay_alu instid0(VALU_DEP_2) | instskip(NEXT) | instid1(VALU_DEP_2)
	v_fma_f32 v16, -v38, v42, v16
	v_fmac_f32_e32 v22, v37, v42
	s_delay_alu instid0(VALU_DEP_2) | instskip(NEXT) | instid1(VALU_DEP_2)
	v_fmac_f32_e32 v16, v39, v43
	v_fmac_f32_e32 v22, v40, v43
	s_delay_alu instid0(VALU_DEP_2) | instskip(NEXT) | instid1(VALU_DEP_2)
	v_fma_f32 v23, -v40, v44, v16
	v_fmac_f32_e32 v22, v39, v44
	s_cbranch_scc1 .LBB8_36
; %bb.37:                               ;   in Loop: Header=BB8_15 Depth=1
	s_mov_b32 s35, s30
	s_and_not1_b32 vcc_lo, exec_lo, s33
	s_cbranch_vccz .LBB8_39
	s_branch .LBB8_41
.LBB8_38:                               ;   in Loop: Header=BB8_15 Depth=1
	s_mov_b32 s35, 0
	s_and_not1_b32 vcc_lo, exec_lo, s33
	s_cbranch_vccnz .LBB8_41
.LBB8_39:                               ;   in Loop: Header=BB8_15 Depth=1
	s_lshl_b32 s35, s35, 3
	s_delay_alu instid0(SALU_CYCLE_1)
	v_add_nc_u32_e32 v14, s35, v26
	v_add_nc_u32_e32 v15, s35, v27
	s_mov_b32 s35, s28
.LBB8_40:                               ;   Parent Loop BB8_15 Depth=1
                                        ; =>  This Inner Loop Header: Depth=2
	ds_load_b64 v[16:17], v15
	ds_load_b64 v[29:30], v14
	s_add_i32 s35, s35, -1
	v_add_nc_u32_e32 v14, 8, v14
	v_add_nc_u32_e32 v15, 8, v15
	s_cmp_lg_u32 s35, 0
	s_waitcnt lgkmcnt(0)
	v_fmac_f32_e32 v23, v16, v29
	v_fmac_f32_e32 v22, v17, v29
	s_delay_alu instid0(VALU_DEP_2) | instskip(NEXT) | instid1(VALU_DEP_2)
	v_fma_f32 v23, -v17, v30, v23
	v_fmac_f32_e32 v22, v16, v30
	s_cbranch_scc1 .LBB8_40
.LBB8_41:                               ;   in Loop: Header=BB8_15 Depth=1
	s_or_b32 exec_lo, exec_lo, s34
	s_and_saveexec_b32 s34, s27
	s_cbranch_execz .LBB8_13
; %bb.42:                               ;   in Loop: Header=BB8_15 Depth=1
	s_and_not1_b32 vcc_lo, exec_lo, s29
	s_cbranch_vccnz .LBB8_46
; %bb.43:                               ;   in Loop: Header=BB8_15 Depth=1
	v_dual_mov_b32 v14, v27 :: v_dual_mov_b32 v15, v28
	s_mov_b32 s35, 0
.LBB8_44:                               ;   Parent Loop BB8_15 Depth=1
                                        ; =>  This Inner Loop Header: Depth=2
	ds_load_b128 v[29:32], v15
	ds_load_b128 v[33:36], v14
	ds_load_b128 v[37:40], v14 offset:16
	ds_load_b128 v[41:44], v15 offset:16
	s_add_i32 s35, s35, 8
	s_delay_alu instid0(SALU_CYCLE_1) | instskip(SKIP_3) | instid1(VALU_DEP_2)
	s_cmp_lg_u32 s30, s35
	s_waitcnt lgkmcnt(2)
	v_fmac_f32_e32 v3, v33, v29
	v_fmac_f32_e32 v1, v34, v29
	v_fma_f32 v3, -v34, v30, v3
	s_delay_alu instid0(VALU_DEP_2) | instskip(NEXT) | instid1(VALU_DEP_2)
	v_fmac_f32_e32 v1, v33, v30
	v_fmac_f32_e32 v3, v35, v31
	s_delay_alu instid0(VALU_DEP_2) | instskip(NEXT) | instid1(VALU_DEP_2)
	v_fmac_f32_e32 v1, v36, v31
	v_fma_f32 v3, -v36, v32, v3
	s_delay_alu instid0(VALU_DEP_2)
	v_fmac_f32_e32 v1, v35, v32
	ds_load_b128 v[29:32], v15 offset:32
	ds_load_b128 v[33:36], v14 offset:32
	s_waitcnt lgkmcnt(2)
	v_fmac_f32_e32 v3, v37, v41
	v_fmac_f32_e32 v1, v38, v41
	s_delay_alu instid0(VALU_DEP_2) | instskip(NEXT) | instid1(VALU_DEP_2)
	v_fma_f32 v3, -v38, v42, v3
	v_fmac_f32_e32 v1, v37, v42
	s_delay_alu instid0(VALU_DEP_2) | instskip(NEXT) | instid1(VALU_DEP_2)
	v_fmac_f32_e32 v3, v39, v43
	v_fmac_f32_e32 v1, v40, v43
	s_delay_alu instid0(VALU_DEP_2) | instskip(NEXT) | instid1(VALU_DEP_2)
	v_fma_f32 v3, -v40, v44, v3
	v_fmac_f32_e32 v1, v39, v44
	ds_load_b128 v[37:40], v14 offset:48
	ds_load_b128 v[41:44], v15 offset:48
	v_add_nc_u32_e32 v14, 64, v14
	v_add_nc_u32_e32 v15, 64, v15
	s_waitcnt lgkmcnt(2)
	v_fmac_f32_e32 v3, v33, v29
	v_fmac_f32_e32 v1, v34, v29
	s_delay_alu instid0(VALU_DEP_2) | instskip(NEXT) | instid1(VALU_DEP_2)
	v_fma_f32 v3, -v34, v30, v3
	v_fmac_f32_e32 v1, v33, v30
	s_delay_alu instid0(VALU_DEP_2) | instskip(NEXT) | instid1(VALU_DEP_2)
	v_fmac_f32_e32 v3, v35, v31
	v_fmac_f32_e32 v1, v36, v31
	s_delay_alu instid0(VALU_DEP_2) | instskip(NEXT) | instid1(VALU_DEP_2)
	v_fma_f32 v3, -v36, v32, v3
	v_fmac_f32_e32 v1, v35, v32
	s_waitcnt lgkmcnt(0)
	s_delay_alu instid0(VALU_DEP_2) | instskip(NEXT) | instid1(VALU_DEP_2)
	v_fmac_f32_e32 v3, v37, v41
	v_fmac_f32_e32 v1, v38, v41
	s_delay_alu instid0(VALU_DEP_2) | instskip(NEXT) | instid1(VALU_DEP_2)
	v_fma_f32 v3, -v38, v42, v3
	v_fmac_f32_e32 v1, v37, v42
	s_delay_alu instid0(VALU_DEP_2) | instskip(NEXT) | instid1(VALU_DEP_2)
	v_fmac_f32_e32 v3, v39, v43
	v_fmac_f32_e32 v1, v40, v43
	s_delay_alu instid0(VALU_DEP_2) | instskip(NEXT) | instid1(VALU_DEP_2)
	v_fma_f32 v3, -v40, v44, v3
	v_fmac_f32_e32 v1, v39, v44
	s_cbranch_scc1 .LBB8_44
; %bb.45:                               ;   in Loop: Header=BB8_15 Depth=1
	s_mov_b32 s35, s30
	s_and_not1_b32 vcc_lo, exec_lo, s33
	s_cbranch_vccz .LBB8_47
	s_branch .LBB8_13
.LBB8_46:                               ;   in Loop: Header=BB8_15 Depth=1
	s_mov_b32 s35, 0
	s_and_not1_b32 vcc_lo, exec_lo, s33
	s_cbranch_vccnz .LBB8_13
.LBB8_47:                               ;   in Loop: Header=BB8_15 Depth=1
	s_lshl_b32 s35, s35, 3
	s_delay_alu instid0(SALU_CYCLE_1)
	v_add_nc_u32_e32 v14, s35, v28
	v_add_nc_u32_e32 v15, s35, v27
	s_mov_b32 s35, s28
.LBB8_48:                               ;   Parent Loop BB8_15 Depth=1
                                        ; =>  This Inner Loop Header: Depth=2
	ds_load_b64 v[16:17], v15
	ds_load_b64 v[29:30], v14
	v_add_nc_u32_e32 v15, 8, v15
	s_add_i32 s35, s35, -1
	v_add_nc_u32_e32 v14, 8, v14
	s_cmp_lg_u32 s35, 0
	s_waitcnt lgkmcnt(0)
	v_fmac_f32_e32 v3, v16, v29
	v_fmac_f32_e32 v1, v17, v29
	s_delay_alu instid0(VALU_DEP_2) | instskip(NEXT) | instid1(VALU_DEP_2)
	v_fma_f32 v3, -v17, v30, v3
	v_fmac_f32_e32 v1, v16, v30
	s_cbranch_scc1 .LBB8_48
	s_branch .LBB8_13
.LBB8_49:
	v_dual_mov_b32 v2, s2 :: v_dual_mov_b32 v3, s3
	flat_load_b32 v19, v[2:3] offset:4
	v_cmp_ne_u32_e32 vcc_lo, 1, v1
	s_waitcnt lgkmcnt(0)
	v_mov_b32_e32 v20, s10
	s_cbranch_vccnz .LBB8_4
.LBB8_50:
	v_dual_mov_b32 v2, s10 :: v_dual_mov_b32 v3, s11
	flat_load_b32 v20, v[2:3]
	v_cmp_ne_u32_e32 vcc_lo, 1, v1
	v_mov_b32_e32 v21, s11
	s_cbranch_vccz .LBB8_5
	s_branch .LBB8_6
.LBB8_51:
	s_delay_alu instid0(VALU_DEP_1) | instskip(NEXT) | instid1(SALU_CYCLE_1)
	s_and_b32 s4, s7, s4
	s_and_b32 exec_lo, exec_lo, s4
	s_cbranch_execz .LBB8_62
; %bb.52:
	v_mad_u64_u32 v[5:6], null, s14, s12, v[4:5]
	s_load_b64 s[4:5], s[0:1], 0x58
	v_cmp_neq_f32_e32 vcc_lo, 0, v20
	v_cmp_neq_f32_e64 s0, 0, v21
	s_delay_alu instid0(VALU_DEP_3) | instskip(NEXT) | instid1(VALU_DEP_2)
	v_ashrrev_i32_e32 v6, 31, v5
	s_or_b32 s0, vcc_lo, s0
	s_delay_alu instid0(VALU_DEP_1) | instskip(NEXT) | instid1(VALU_DEP_1)
	v_lshlrev_b64 v[4:5], 3, v[5:6]
	v_add_co_u32 v4, s1, s10, v4
	s_delay_alu instid0(VALU_DEP_1)
	v_add_co_ci_u32_e64 v5, s1, s11, v5, s1
	s_and_saveexec_b32 s1, s3
	s_cbranch_execz .LBB8_57
; %bb.53:
	s_and_saveexec_b32 s3, s0
	s_delay_alu instid0(SALU_CYCLE_1)
	s_xor_b32 s3, exec_lo, s3
	s_cbranch_execz .LBB8_55
; %bb.54:
	v_ashrrev_i32_e32 v8, 31, v2
	s_waitcnt lgkmcnt(0)
	v_mul_lo_u32 v9, v2, s5
	v_mad_u64_u32 v[6:7], null, v2, s4, 0
	s_delay_alu instid0(VALU_DEP_3) | instskip(NEXT) | instid1(VALU_DEP_1)
	v_mul_lo_u32 v2, v8, s4
	v_add3_u32 v7, v7, v9, v2
	v_mul_f32_e64 v2, v22, -v19
	s_delay_alu instid0(VALU_DEP_2) | instskip(NEXT) | instid1(VALU_DEP_1)
	v_lshlrev_b64 v[6:7], 3, v[6:7]
	v_add_co_u32 v6, vcc_lo, v4, v6
	s_delay_alu instid0(VALU_DEP_2) | instskip(SKIP_4) | instid1(VALU_DEP_1)
	v_add_co_ci_u32_e32 v7, vcc_lo, v5, v7, vcc_lo
	global_load_b64 v[8:9], v[6:7], off
	v_fmac_f32_e32 v2, v18, v23
	v_mul_f32_e32 v11, v22, v18
                                        ; implicit-def: $vgpr22
	s_waitcnt vmcnt(0)
	v_dual_fmac_f32 v2, v20, v8 :: v_dual_fmac_f32 v11, v19, v23
                                        ; implicit-def: $vgpr23
	s_delay_alu instid0(VALU_DEP_1) | instskip(NEXT) | instid1(VALU_DEP_2)
	v_fma_f32 v10, -v21, v9, v2
	v_fmac_f32_e32 v11, v21, v8
                                        ; implicit-def: $vgpr2
	s_delay_alu instid0(VALU_DEP_1)
	v_fmac_f32_e32 v11, v20, v9
	global_store_b64 v[6:7], v[10:11], off
.LBB8_55:
	s_and_not1_saveexec_b32 s3, s3
	s_cbranch_execz .LBB8_57
; %bb.56:
	v_ashrrev_i32_e32 v8, 31, v2
	s_waitcnt lgkmcnt(0)
	v_mul_lo_u32 v9, v2, s5
	v_mad_u64_u32 v[6:7], null, v2, s4, 0
	s_delay_alu instid0(VALU_DEP_3) | instskip(SKIP_1) | instid1(VALU_DEP_1)
	v_mul_lo_u32 v2, v8, s4
	v_mul_f32_e64 v8, v22, -v19
	v_fmac_f32_e32 v8, v18, v23
	s_delay_alu instid0(VALU_DEP_3) | instskip(SKIP_1) | instid1(VALU_DEP_2)
	v_add3_u32 v7, v7, v9, v2
	v_mul_f32_e32 v9, v22, v18
	v_lshlrev_b64 v[6:7], 3, v[6:7]
	s_delay_alu instid0(VALU_DEP_2) | instskip(NEXT) | instid1(VALU_DEP_2)
	v_fmac_f32_e32 v9, v19, v23
	v_add_co_u32 v6, vcc_lo, v4, v6
	s_delay_alu instid0(VALU_DEP_3)
	v_add_co_ci_u32_e32 v7, vcc_lo, v5, v7, vcc_lo
	global_store_b64 v[6:7], v[8:9], off
.LBB8_57:
	s_or_b32 exec_lo, exec_lo, s1
	s_delay_alu instid0(SALU_CYCLE_1)
	s_and_b32 exec_lo, exec_lo, s2
	s_cbranch_execz .LBB8_62
; %bb.58:
	s_and_saveexec_b32 s1, s0
	s_delay_alu instid0(SALU_CYCLE_1)
	s_xor_b32 s0, exec_lo, s1
	s_cbranch_execz .LBB8_60
; %bb.59:
	v_ashrrev_i32_e32 v2, 31, v0
	s_waitcnt lgkmcnt(0)
	v_mul_lo_u32 v8, v0, s5
	v_mad_u64_u32 v[6:7], null, v0, s4, 0
	s_delay_alu instid0(VALU_DEP_3) | instskip(NEXT) | instid1(VALU_DEP_1)
	v_mul_lo_u32 v0, v2, s4
	v_add3_u32 v7, v7, v8, v0
	v_mul_f32_e64 v0, v1, -v19
	v_mul_f32_e32 v1, v1, v18
	s_delay_alu instid0(VALU_DEP_3) | instskip(NEXT) | instid1(VALU_DEP_3)
	v_lshlrev_b64 v[6:7], 3, v[6:7]
	v_fmac_f32_e32 v0, v18, v3
                                        ; implicit-def: $vgpr18
	s_delay_alu instid0(VALU_DEP_2) | instskip(NEXT) | instid1(VALU_DEP_3)
	v_add_co_u32 v4, vcc_lo, v4, v6
	v_add_co_ci_u32_e32 v5, vcc_lo, v5, v7, vcc_lo
	global_load_b64 v[6:7], v[4:5], off
	v_fmac_f32_e32 v1, v19, v3
                                        ; implicit-def: $vgpr19
                                        ; implicit-def: $vgpr3
	s_waitcnt vmcnt(0)
	v_fmac_f32_e32 v0, v20, v6
	s_delay_alu instid0(VALU_DEP_2) | instskip(NEXT) | instid1(VALU_DEP_2)
	v_fmac_f32_e32 v1, v21, v6
	v_fma_f32 v0, -v21, v7, v0
	s_delay_alu instid0(VALU_DEP_2)
	v_fmac_f32_e32 v1, v20, v7
	global_store_b64 v[4:5], v[0:1], off
                                        ; implicit-def: $vgpr1
                                        ; implicit-def: $vgpr0
                                        ; implicit-def: $vgpr4
                                        ; implicit-def: $vgpr5
.LBB8_60:
	s_and_not1_saveexec_b32 s0, s0
	s_cbranch_execz .LBB8_62
; %bb.61:
	v_ashrrev_i32_e32 v2, 31, v0
	s_waitcnt lgkmcnt(0)
	v_mul_lo_u32 v8, v0, s5
	v_mad_u64_u32 v[6:7], null, v0, s4, 0
	s_delay_alu instid0(VALU_DEP_3) | instskip(NEXT) | instid1(VALU_DEP_1)
	v_mul_lo_u32 v0, v2, s4
	v_add3_u32 v7, v7, v8, v0
	v_mul_f32_e64 v0, v1, -v19
	v_mul_f32_e32 v1, v1, v18
	s_delay_alu instid0(VALU_DEP_3) | instskip(NEXT) | instid1(VALU_DEP_3)
	v_lshlrev_b64 v[6:7], 3, v[6:7]
	v_fmac_f32_e32 v0, v18, v3
	s_delay_alu instid0(VALU_DEP_3) | instskip(NEXT) | instid1(VALU_DEP_3)
	v_fmac_f32_e32 v1, v19, v3
	v_add_co_u32 v2, vcc_lo, v4, v6
	s_delay_alu instid0(VALU_DEP_4)
	v_add_co_ci_u32_e32 v3, vcc_lo, v5, v7, vcc_lo
	global_store_b64 v[2:3], v[0:1], off
.LBB8_62:
	s_nop 0
	s_sendmsg sendmsg(MSG_DEALLOC_VGPRS)
	s_endpgm
	.section	.rodata,"a",@progbits
	.p2align	6, 0x0
	.amdhsa_kernel _ZN9rocsparseL33gebsrmm_large_blockdim_kernel_extILi32ELi32ELi2E21rocsparse_complex_numIfEEEv20rocsparse_direction_20rocsparse_operation_iiNS_24const_host_device_scalarIT2_EEPKiS9_PKS6_iiSB_lS7_PS6_l21rocsparse_index_base_b
		.amdhsa_group_segment_fixed_size 24576
		.amdhsa_private_segment_fixed_size 0
		.amdhsa_kernarg_size 104
		.amdhsa_user_sgpr_count 14
		.amdhsa_user_sgpr_dispatch_ptr 0
		.amdhsa_user_sgpr_queue_ptr 0
		.amdhsa_user_sgpr_kernarg_segment_ptr 1
		.amdhsa_user_sgpr_dispatch_id 0
		.amdhsa_user_sgpr_private_segment_size 0
		.amdhsa_wavefront_size32 1
		.amdhsa_uses_dynamic_stack 0
		.amdhsa_enable_private_segment 0
		.amdhsa_system_sgpr_workgroup_id_x 1
		.amdhsa_system_sgpr_workgroup_id_y 1
		.amdhsa_system_sgpr_workgroup_id_z 0
		.amdhsa_system_sgpr_workgroup_info 0
		.amdhsa_system_vgpr_workitem_id 1
		.amdhsa_next_free_vgpr 45
		.amdhsa_next_free_sgpr 38
		.amdhsa_reserve_vcc 1
		.amdhsa_float_round_mode_32 0
		.amdhsa_float_round_mode_16_64 0
		.amdhsa_float_denorm_mode_32 3
		.amdhsa_float_denorm_mode_16_64 3
		.amdhsa_dx10_clamp 1
		.amdhsa_ieee_mode 1
		.amdhsa_fp16_overflow 0
		.amdhsa_workgroup_processor_mode 1
		.amdhsa_memory_ordered 1
		.amdhsa_forward_progress 0
		.amdhsa_shared_vgpr_count 0
		.amdhsa_exception_fp_ieee_invalid_op 0
		.amdhsa_exception_fp_denorm_src 0
		.amdhsa_exception_fp_ieee_div_zero 0
		.amdhsa_exception_fp_ieee_overflow 0
		.amdhsa_exception_fp_ieee_underflow 0
		.amdhsa_exception_fp_ieee_inexact 0
		.amdhsa_exception_int_div_zero 0
	.end_amdhsa_kernel
	.section	.text._ZN9rocsparseL33gebsrmm_large_blockdim_kernel_extILi32ELi32ELi2E21rocsparse_complex_numIfEEEv20rocsparse_direction_20rocsparse_operation_iiNS_24const_host_device_scalarIT2_EEPKiS9_PKS6_iiSB_lS7_PS6_l21rocsparse_index_base_b,"axG",@progbits,_ZN9rocsparseL33gebsrmm_large_blockdim_kernel_extILi32ELi32ELi2E21rocsparse_complex_numIfEEEv20rocsparse_direction_20rocsparse_operation_iiNS_24const_host_device_scalarIT2_EEPKiS9_PKS6_iiSB_lS7_PS6_l21rocsparse_index_base_b,comdat
.Lfunc_end8:
	.size	_ZN9rocsparseL33gebsrmm_large_blockdim_kernel_extILi32ELi32ELi2E21rocsparse_complex_numIfEEEv20rocsparse_direction_20rocsparse_operation_iiNS_24const_host_device_scalarIT2_EEPKiS9_PKS6_iiSB_lS7_PS6_l21rocsparse_index_base_b, .Lfunc_end8-_ZN9rocsparseL33gebsrmm_large_blockdim_kernel_extILi32ELi32ELi2E21rocsparse_complex_numIfEEEv20rocsparse_direction_20rocsparse_operation_iiNS_24const_host_device_scalarIT2_EEPKiS9_PKS6_iiSB_lS7_PS6_l21rocsparse_index_base_b
                                        ; -- End function
	.section	.AMDGPU.csdata,"",@progbits
; Kernel info:
; codeLenInByte = 2888
; NumSgprs: 40
; NumVgprs: 45
; ScratchSize: 0
; MemoryBound: 0
; FloatMode: 240
; IeeeMode: 1
; LDSByteSize: 24576 bytes/workgroup (compile time only)
; SGPRBlocks: 4
; VGPRBlocks: 5
; NumSGPRsForWavesPerEU: 40
; NumVGPRsForWavesPerEU: 45
; Occupancy: 16
; WaveLimiterHint : 1
; COMPUTE_PGM_RSRC2:SCRATCH_EN: 0
; COMPUTE_PGM_RSRC2:USER_SGPR: 14
; COMPUTE_PGM_RSRC2:TRAP_HANDLER: 0
; COMPUTE_PGM_RSRC2:TGID_X_EN: 1
; COMPUTE_PGM_RSRC2:TGID_Y_EN: 1
; COMPUTE_PGM_RSRC2:TGID_Z_EN: 0
; COMPUTE_PGM_RSRC2:TIDIG_COMP_CNT: 1
	.section	.text._ZN9rocsparseL33gebsrmm_large_blockdim_kernel_extILi8ELi8ELi2E21rocsparse_complex_numIdEEEv20rocsparse_direction_20rocsparse_operation_iiNS_24const_host_device_scalarIT2_EEPKiS9_PKS6_iiSB_lS7_PS6_l21rocsparse_index_base_b,"axG",@progbits,_ZN9rocsparseL33gebsrmm_large_blockdim_kernel_extILi8ELi8ELi2E21rocsparse_complex_numIdEEEv20rocsparse_direction_20rocsparse_operation_iiNS_24const_host_device_scalarIT2_EEPKiS9_PKS6_iiSB_lS7_PS6_l21rocsparse_index_base_b,comdat
	.globl	_ZN9rocsparseL33gebsrmm_large_blockdim_kernel_extILi8ELi8ELi2E21rocsparse_complex_numIdEEEv20rocsparse_direction_20rocsparse_operation_iiNS_24const_host_device_scalarIT2_EEPKiS9_PKS6_iiSB_lS7_PS6_l21rocsparse_index_base_b ; -- Begin function _ZN9rocsparseL33gebsrmm_large_blockdim_kernel_extILi8ELi8ELi2E21rocsparse_complex_numIdEEEv20rocsparse_direction_20rocsparse_operation_iiNS_24const_host_device_scalarIT2_EEPKiS9_PKS6_iiSB_lS7_PS6_l21rocsparse_index_base_b
	.p2align	8
	.type	_ZN9rocsparseL33gebsrmm_large_blockdim_kernel_extILi8ELi8ELi2E21rocsparse_complex_numIdEEEv20rocsparse_direction_20rocsparse_operation_iiNS_24const_host_device_scalarIT2_EEPKiS9_PKS6_iiSB_lS7_PS6_l21rocsparse_index_base_b,@function
_ZN9rocsparseL33gebsrmm_large_blockdim_kernel_extILi8ELi8ELi2E21rocsparse_complex_numIdEEEv20rocsparse_direction_20rocsparse_operation_iiNS_24const_host_device_scalarIT2_EEPKiS9_PKS6_iiSB_lS7_PS6_l21rocsparse_index_base_b: ; @_ZN9rocsparseL33gebsrmm_large_blockdim_kernel_extILi8ELi8ELi2E21rocsparse_complex_numIdEEEv20rocsparse_direction_20rocsparse_operation_iiNS_24const_host_device_scalarIT2_EEPKiS9_PKS6_iiSB_lS7_PS6_l21rocsparse_index_base_b
; %bb.0:
	s_load_b64 s[12:13], s[2:3], 0x70
	s_load_b64 s[16:17], s[0:1], 0x4
	s_load_b128 s[4:7], s[2:3], 0x10
	v_bfe_u32 v16, v0, 10, 10
	s_mov_b64 s[0:1], src_shared_base
	s_load_b128 s[8:11], s[2:3], 0x48
	v_and_b32_e32 v10, 0x3ff, v0
	v_bfe_u32 v0, v0, 20, 10
	s_waitcnt lgkmcnt(0)
	s_bitcmp1_b32 s13, 0
	v_mul_u32_u24_e32 v1, s17, v16
	s_cselect_b32 s0, -1, 0
	s_delay_alu instid0(SALU_CYCLE_1) | instskip(SKIP_4) | instid1(SALU_CYCLE_1)
	s_and_b32 vcc_lo, s0, exec_lo
	s_cselect_b32 s13, s1, s5
	s_lshr_b32 s16, s16, 16
	v_mov_b32_e32 v5, s13
	s_mul_i32 s16, s16, s17
	v_mad_u32_u24 v1, s16, v10, v1
	s_load_b64 s[16:17], s[2:3], 0x58
	v_dual_mov_b32 v2, s10 :: v_dual_mov_b32 v3, s11
	s_delay_alu instid0(VALU_DEP_2) | instskip(SKIP_1) | instid1(VALU_DEP_2)
	v_add_lshl_u32 v6, v1, v0, 3
	v_dual_mov_b32 v0, s4 :: v_dual_mov_b32 v1, s5
	v_add_nc_u32_e32 v4, 0xe00, v6
	ds_store_2addr_stride64_b64 v6, v[2:3], v[0:1] offset0:6 offset1:7
	v_dual_mov_b32 v2, s6 :: v_dual_mov_b32 v3, s7
	v_cndmask_b32_e64 v4, s4, v4, s0
	s_xor_b32 s6, s0, -1
	flat_load_b64 v[0:1], v[4:5]
	v_add_nc_u32_e32 v4, 0xc00, v6
	s_cbranch_vccnz .LBB9_2
; %bb.1:
	v_dual_mov_b32 v2, s4 :: v_dual_mov_b32 v3, s5
	flat_load_b64 v[2:3], v[2:3] offset:8
.LBB9_2:
	s_and_b32 s4, s0, exec_lo
	s_cselect_b32 s1, s1, s11
	s_delay_alu instid0(VALU_DEP_1)
	v_cndmask_b32_e64 v4, s10, v4, s0
	s_waitcnt lgkmcnt(0)
	v_dual_mov_b32 v5, s1 :: v_dual_mov_b32 v6, s16
	v_mov_b32_e32 v7, s17
	s_and_not1_b32 vcc_lo, exec_lo, s6
	flat_load_b64 v[4:5], v[4:5]
	s_cbranch_vccnz .LBB9_4
; %bb.3:
	v_dual_mov_b32 v6, s10 :: v_dual_mov_b32 v7, s11
	flat_load_b64 v[6:7], v[6:7] offset:8
.LBB9_4:
	s_waitcnt vmcnt(1)
	v_cmp_eq_f64_e32 vcc_lo, 0, v[0:1]
	v_cmp_eq_f64_e64 s0, 0, v[2:3]
	s_delay_alu instid0(VALU_DEP_1)
	s_and_b32 s4, vcc_lo, s0
	s_mov_b32 s0, -1
	s_and_saveexec_b32 s1, s4
	s_cbranch_execz .LBB9_6
; %bb.5:
	s_waitcnt vmcnt(0) lgkmcnt(0)
	v_cmp_neq_f64_e32 vcc_lo, 1.0, v[4:5]
	v_cmp_neq_f64_e64 s0, 0, v[6:7]
	s_delay_alu instid0(VALU_DEP_1) | instskip(NEXT) | instid1(SALU_CYCLE_1)
	s_or_b32 s0, vcc_lo, s0
	s_or_not1_b32 s0, s0, exec_lo
.LBB9_6:
	s_or_b32 exec_lo, exec_lo, s1
	s_and_saveexec_b32 s1, s0
	s_cbranch_execz .LBB9_58
; %bb.7:
	s_load_b128 s[20:23], s[2:3], 0x0
	s_mov_b32 s26, 0
	s_waitcnt lgkmcnt(0)
	s_cmp_lt_i32 s14, s22
	s_cselect_b32 s13, -1, 0
	s_cmp_ge_i32 s14, s22
	s_mov_b32 s22, 0
	s_cbranch_scc1 .LBB9_9
; %bb.8:
	s_load_b64 s[4:5], s[2:3], 0x20
	s_mov_b32 s0, s15
	s_ashr_i32 s15, s14, 31
	s_delay_alu instid0(SALU_CYCLE_1)
	s_lshl_b64 s[6:7], s[14:15], 2
	s_mov_b32 s15, s0
	s_waitcnt lgkmcnt(0)
	s_add_u32 s0, s4, s6
	s_addc_u32 s1, s5, s7
	s_load_b64 s[0:1], s[0:1], 0x0
	s_waitcnt lgkmcnt(0)
	s_sub_i32 s22, s0, s12
	s_sub_i32 s26, s1, s12
.LBB9_9:
	s_clause 0x1
	s_load_b64 s[10:11], s[2:3], 0x38
	s_load_b64 s[6:7], s[2:3], 0x60
	v_lshl_add_u32 v11, s15, 4, v16
	v_mov_b32_e32 v12, 0
	v_mov_b32_e32 v13, 0
	s_cmp_ge_i32 s22, s26
	s_delay_alu instid0(VALU_DEP_3) | instskip(SKIP_1) | instid1(VALU_DEP_3)
	v_add_nc_u32_e32 v8, 8, v11
	v_cmp_gt_i32_e64 s1, s23, v11
	v_dual_mov_b32 v15, v13 :: v_dual_mov_b32 v14, v12
	v_dual_mov_b32 v28, v13 :: v_dual_mov_b32 v27, v12
	s_delay_alu instid0(VALU_DEP_4)
	v_cmp_gt_i32_e64 s0, s23, v8
	v_dual_mov_b32 v26, v13 :: v_dual_mov_b32 v25, v12
	s_waitcnt lgkmcnt(0)
	v_cmp_gt_i32_e64 s4, s10, v10
	s_cbranch_scc1 .LBB9_47
; %bb.10:
	v_cmp_gt_i32_e32 vcc_lo, s11, v16
	v_mad_u64_u32 v[13:14], null, v16, s10, v[10:11]
	v_ashrrev_i32_e32 v9, 31, v8
	v_ashrrev_i32_e32 v12, 31, v11
	s_and_b32 s15, s4, vcc_lo
	s_cmpk_lg_i32 s21, 0x6f
	s_clause 0x1
	s_load_b128 s[16:19], s[2:3], 0x28
	s_load_b64 s[24:25], s[2:3], 0x40
	s_cselect_b32 s21, -1, 0
	s_cmp_eq_u32 s20, 0
	v_mul_lo_u32 v20, v8, s9
	s_cselect_b32 vcc_lo, -1, 0
	v_lshlrev_b32_e32 v17, 3, v16
	v_mul_lo_u32 v25, v9, s8
	v_mad_u64_u32 v[23:24], null, v8, s8, 0
	v_mul_lo_u32 v19, v12, s8
	s_delay_alu instid0(VALU_DEP_4)
	v_mad_u64_u32 v[14:15], null, v10, s11, v[16:17]
	v_mul_lo_u32 v15, v11, s9
	v_mad_u64_u32 v[21:22], null, v11, s8, 0
	v_lshl_add_u32 v18, v10, 3, v16
	v_lshlrev_b32_e32 v36, 7, v16
	s_cmp_gt_i32 s11, 0
	v_cndmask_b32_e32 v16, v13, v14, vcc_lo
	v_add_lshl_u32 v33, v17, v10, 4
	v_add3_u32 v24, v24, v20, v25
	v_mov_b32_e32 v25, 0
	v_add3_u32 v22, v22, v15, v19
	s_delay_alu instid0(VALU_DEP_4)
	v_dual_mov_b32 v26, 0 :: v_dual_add_nc_u32 v35, 0x400, v33
	s_cselect_b32 s23, -1, 0
	s_and_b32 s28, s11, 7
	s_and_b32 s20, s1, s23
	;; [unrolled: 1-line block ×3, first 2 shown]
	s_cmp_gt_u32 s11, 7
	v_lshl_add_u32 v34, v18, 4, 0x800
	v_lshlrev_b64 v[17:18], 4, v[11:12]
	v_lshlrev_b64 v[19:20], 4, v[8:9]
	;; [unrolled: 1-line block ×4, first 2 shown]
	v_mov_b32_e32 v28, v26
	v_cmp_gt_i32_e64 s5, s11, v10
	s_cselect_b32 s29, -1, 0
	s_and_b32 s30, s11, 0x7ffffff8
	v_lshl_add_u32 v37, v10, 7, 0x800
	v_dual_mov_b32 v27, v25 :: v_dual_add_nc_u32 v38, 0x400, v36
	v_dual_mov_b32 v14, v25 :: v_dual_mov_b32 v15, v26
	v_dual_mov_b32 v12, v25 :: v_dual_mov_b32 v13, v26
	s_cmp_lg_u32 s28, 0
	s_mul_i32 s31, s11, s10
	s_cselect_b32 s33, -1, 0
	s_branch .LBB9_13
.LBB9_11:                               ;   in Loop: Header=BB9_13 Depth=1
	s_or_b32 exec_lo, exec_lo, s34
.LBB9_12:                               ;   in Loop: Header=BB9_13 Depth=1
	s_delay_alu instid0(SALU_CYCLE_1) | instskip(SKIP_1) | instid1(SALU_CYCLE_1)
	s_or_b32 exec_lo, exec_lo, s23
	s_add_i32 s22, s22, 1
	s_cmp_ge_i32 s22, s26
	s_barrier
	buffer_gl0_inv
	s_cbranch_scc1 .LBB9_47
.LBB9_13:                               ; =>This Loop Header: Depth=1
                                        ;     Child Loop BB9_34 Depth 2
                                        ;     Child Loop BB9_38 Depth 2
	;; [unrolled: 1-line block ×4, first 2 shown]
	s_and_saveexec_b32 s34, s5
	s_cbranch_execz .LBB9_28
; %bb.14:                               ;   in Loop: Header=BB9_13 Depth=1
	s_ashr_i32 s23, s22, 31
	s_delay_alu instid0(SALU_CYCLE_1)
	s_lshl_b64 s[36:37], s[22:23], 2
	s_waitcnt lgkmcnt(0)
	s_add_u32 s36, s16, s36
	s_addc_u32 s37, s17, s37
	s_and_not1_b32 vcc_lo, exec_lo, s21
	s_load_b32 s23, s[36:37], 0x0
	s_waitcnt lgkmcnt(0)
	s_sub_i32 s23, s23, s12
	s_delay_alu instid0(SALU_CYCLE_1) | instskip(NEXT) | instid1(VALU_DEP_1)
	v_mad_u64_u32 v[29:30], null, s23, s11, v[10:11]
	v_ashrrev_i32_e32 v30, 31, v29
	s_cbranch_vccnz .LBB9_20
; %bb.15:                               ;   in Loop: Header=BB9_13 Depth=1
	s_delay_alu instid0(VALU_DEP_1) | instskip(SKIP_2) | instid1(VALU_DEP_1)
	v_mul_lo_u32 v9, v30, s8
	v_mul_lo_u32 v39, v29, s9
	v_mad_u64_u32 v[31:32], null, v29, s8, 0
	v_add3_u32 v32, v32, v39, v9
	s_delay_alu instid0(VALU_DEP_1) | instskip(NEXT) | instid1(VALU_DEP_1)
	v_lshlrev_b64 v[31:32], 4, v[31:32]
	v_add_co_u32 v9, vcc_lo, s24, v31
	s_delay_alu instid0(VALU_DEP_2)
	v_add_co_ci_u32_e32 v39, vcc_lo, s25, v32, vcc_lo
	s_and_saveexec_b32 s23, s1
	s_cbranch_execz .LBB9_17
; %bb.16:                               ;   in Loop: Header=BB9_13 Depth=1
	s_delay_alu instid0(VALU_DEP_2) | instskip(NEXT) | instid1(VALU_DEP_2)
	v_add_co_u32 v31, vcc_lo, v9, v17
	v_add_co_ci_u32_e32 v32, vcc_lo, v39, v18, vcc_lo
	global_load_b128 v[40:43], v[31:32], off
	s_waitcnt vmcnt(0)
	ds_store_2addr_b64 v33, v[40:41], v[42:43] offset1:1
.LBB9_17:                               ;   in Loop: Header=BB9_13 Depth=1
	s_or_b32 exec_lo, exec_lo, s23
	s_mov_b32 s35, 0
	s_mov_b32 s23, 0
                                        ; implicit-def: $vgpr31_vgpr32
	s_and_saveexec_b32 s36, s0
	s_delay_alu instid0(SALU_CYCLE_1)
	s_xor_b32 s36, exec_lo, s36
; %bb.18:                               ;   in Loop: Header=BB9_13 Depth=1
	v_add_co_u32 v31, vcc_lo, v9, v19
	v_add_co_ci_u32_e32 v32, vcc_lo, v39, v20, vcc_lo
	s_mov_b32 s23, exec_lo
; %bb.19:                               ;   in Loop: Header=BB9_13 Depth=1
	s_or_b32 exec_lo, exec_lo, s36
	s_delay_alu instid0(SALU_CYCLE_1)
	s_and_b32 vcc_lo, exec_lo, s35
	s_cbranch_vccnz .LBB9_21
	s_branch .LBB9_26
.LBB9_20:                               ;   in Loop: Header=BB9_13 Depth=1
	s_mov_b32 s23, 0
                                        ; implicit-def: $vgpr31_vgpr32
	s_cbranch_execz .LBB9_26
.LBB9_21:                               ;   in Loop: Header=BB9_13 Depth=1
	s_delay_alu instid0(VALU_DEP_1) | instskip(NEXT) | instid1(VALU_DEP_1)
	v_lshlrev_b64 v[29:30], 4, v[29:30]
	v_add_co_u32 v9, vcc_lo, s24, v29
	s_delay_alu instid0(VALU_DEP_2)
	v_add_co_ci_u32_e32 v29, vcc_lo, s25, v30, vcc_lo
	s_and_saveexec_b32 s35, s1
	s_cbranch_execz .LBB9_23
; %bb.22:                               ;   in Loop: Header=BB9_13 Depth=1
	s_delay_alu instid0(VALU_DEP_2) | instskip(NEXT) | instid1(VALU_DEP_2)
	v_add_co_u32 v30, vcc_lo, v9, v21
	v_add_co_ci_u32_e32 v31, vcc_lo, v29, v22, vcc_lo
	global_load_b128 v[39:42], v[30:31], off
	s_waitcnt vmcnt(0)
	ds_store_2addr_b64 v33, v[39:40], v[41:42] offset1:1
.LBB9_23:                               ;   in Loop: Header=BB9_13 Depth=1
	s_or_b32 exec_lo, exec_lo, s35
                                        ; implicit-def: $vgpr31_vgpr32
	s_and_saveexec_b32 s35, s0
; %bb.24:                               ;   in Loop: Header=BB9_13 Depth=1
	v_add_co_u32 v31, vcc_lo, v9, v23
	v_add_co_ci_u32_e32 v32, vcc_lo, v29, v24, vcc_lo
	s_or_b32 s23, s23, exec_lo
; %bb.25:                               ;   in Loop: Header=BB9_13 Depth=1
	s_or_b32 exec_lo, exec_lo, s35
.LBB9_26:                               ;   in Loop: Header=BB9_13 Depth=1
	s_delay_alu instid0(SALU_CYCLE_1)
	s_and_b32 exec_lo, exec_lo, s23
	s_cbranch_execz .LBB9_28
; %bb.27:                               ;   in Loop: Header=BB9_13 Depth=1
	global_load_b128 v[29:32], v[31:32], off
	s_waitcnt vmcnt(0)
	ds_store_2addr_b64 v35, v[29:30], v[31:32] offset1:1
.LBB9_28:                               ;   in Loop: Header=BB9_13 Depth=1
	s_or_b32 exec_lo, exec_lo, s34
	s_and_saveexec_b32 s23, s15
	s_cbranch_execz .LBB9_30
; %bb.29:                               ;   in Loop: Header=BB9_13 Depth=1
	v_mad_u64_u32 v[29:30], null, s31, s22, v[16:17]
	s_delay_alu instid0(VALU_DEP_1) | instskip(NEXT) | instid1(VALU_DEP_1)
	v_ashrrev_i32_e32 v30, 31, v29
	v_lshlrev_b64 v[29:30], 4, v[29:30]
	s_waitcnt lgkmcnt(0)
	s_delay_alu instid0(VALU_DEP_1) | instskip(NEXT) | instid1(VALU_DEP_2)
	v_add_co_u32 v29, vcc_lo, s18, v29
	v_add_co_ci_u32_e32 v30, vcc_lo, s19, v30, vcc_lo
	global_load_b128 v[29:32], v[29:30], off
	s_waitcnt vmcnt(0)
	ds_store_2addr_b64 v34, v[29:30], v[31:32] offset1:1
.LBB9_30:                               ;   in Loop: Header=BB9_13 Depth=1
	s_or_b32 exec_lo, exec_lo, s23
	s_waitcnt vmcnt(0) lgkmcnt(0)
	s_barrier
	buffer_gl0_inv
	s_and_saveexec_b32 s23, s4
	s_cbranch_execz .LBB9_12
; %bb.31:                               ;   in Loop: Header=BB9_13 Depth=1
	s_and_saveexec_b32 s34, s20
	s_cbranch_execz .LBB9_39
; %bb.32:                               ;   in Loop: Header=BB9_13 Depth=1
	s_and_not1_b32 vcc_lo, exec_lo, s29
	s_cbranch_vccnz .LBB9_36
; %bb.33:                               ;   in Loop: Header=BB9_13 Depth=1
	v_mov_b32_e32 v9, v37
	v_mov_b32_e32 v29, v36
	s_mov_b32 s35, 0
.LBB9_34:                               ;   Parent Loop BB9_13 Depth=1
                                        ; =>  This Inner Loop Header: Depth=2
	ds_load_b128 v[39:42], v29
	ds_load_b128 v[43:46], v9
	ds_load_b128 v[47:50], v9 offset:16
	ds_load_b128 v[51:54], v29 offset:16
	s_add_i32 s35, s35, 8
	s_delay_alu instid0(SALU_CYCLE_1) | instskip(SKIP_3) | instid1(VALU_DEP_2)
	s_cmp_lg_u32 s30, s35
	s_waitcnt lgkmcnt(2)
	v_fma_f64 v[25:26], v[43:44], v[39:40], v[25:26]
	v_fma_f64 v[27:28], v[45:46], v[39:40], v[27:28]
	v_fma_f64 v[25:26], -v[45:46], v[41:42], v[25:26]
	s_delay_alu instid0(VALU_DEP_2) | instskip(SKIP_1) | instid1(VALU_DEP_2)
	v_fma_f64 v[27:28], v[43:44], v[41:42], v[27:28]
	s_waitcnt lgkmcnt(0)
	v_fma_f64 v[25:26], v[47:48], v[51:52], v[25:26]
	s_delay_alu instid0(VALU_DEP_2) | instskip(NEXT) | instid1(VALU_DEP_2)
	v_fma_f64 v[27:28], v[49:50], v[51:52], v[27:28]
	v_fma_f64 v[30:31], -v[49:50], v[53:54], v[25:26]
	s_delay_alu instid0(VALU_DEP_2)
	v_fma_f64 v[51:52], v[47:48], v[53:54], v[27:28]
	ds_load_b128 v[25:28], v29 offset:32
	ds_load_b128 v[39:42], v9 offset:32
	;; [unrolled: 1-line block ×4, first 2 shown]
	s_waitcnt lgkmcnt(2)
	v_fma_f64 v[30:31], v[39:40], v[25:26], v[30:31]
	v_fma_f64 v[25:26], v[41:42], v[25:26], v[51:52]
	s_delay_alu instid0(VALU_DEP_2) | instskip(NEXT) | instid1(VALU_DEP_2)
	v_fma_f64 v[30:31], -v[41:42], v[27:28], v[30:31]
	v_fma_f64 v[25:26], v[39:40], v[27:28], v[25:26]
	s_waitcnt lgkmcnt(0)
	s_delay_alu instid0(VALU_DEP_2) | instskip(NEXT) | instid1(VALU_DEP_2)
	v_fma_f64 v[27:28], v[43:44], v[47:48], v[30:31]
	v_fma_f64 v[25:26], v[45:46], v[47:48], v[25:26]
	s_delay_alu instid0(VALU_DEP_2) | instskip(NEXT) | instid1(VALU_DEP_2)
	v_fma_f64 v[30:31], -v[45:46], v[49:50], v[27:28]
	v_fma_f64 v[51:52], v[43:44], v[49:50], v[25:26]
	ds_load_b128 v[25:28], v29 offset:64
	ds_load_b128 v[39:42], v9 offset:64
	;; [unrolled: 1-line block ×4, first 2 shown]
	s_waitcnt lgkmcnt(2)
	v_fma_f64 v[30:31], v[39:40], v[25:26], v[30:31]
	v_fma_f64 v[25:26], v[41:42], v[25:26], v[51:52]
	s_delay_alu instid0(VALU_DEP_2) | instskip(NEXT) | instid1(VALU_DEP_2)
	v_fma_f64 v[30:31], -v[41:42], v[27:28], v[30:31]
	v_fma_f64 v[25:26], v[39:40], v[27:28], v[25:26]
	s_waitcnt lgkmcnt(0)
	s_delay_alu instid0(VALU_DEP_2) | instskip(NEXT) | instid1(VALU_DEP_2)
	v_fma_f64 v[27:28], v[43:44], v[47:48], v[30:31]
	v_fma_f64 v[25:26], v[45:46], v[47:48], v[25:26]
	s_delay_alu instid0(VALU_DEP_2) | instskip(NEXT) | instid1(VALU_DEP_2)
	v_fma_f64 v[30:31], -v[45:46], v[49:50], v[27:28]
	v_fma_f64 v[51:52], v[43:44], v[49:50], v[25:26]
	ds_load_b128 v[25:28], v29 offset:96
	ds_load_b128 v[39:42], v9 offset:96
	ds_load_b128 v[43:46], v9 offset:112
	ds_load_b128 v[47:50], v29 offset:112
	v_add_nc_u32_e32 v29, 0x80, v29
	v_add_nc_u32_e32 v9, 0x80, v9
	s_waitcnt lgkmcnt(2)
	v_fma_f64 v[30:31], v[39:40], v[25:26], v[30:31]
	v_fma_f64 v[25:26], v[41:42], v[25:26], v[51:52]
	s_delay_alu instid0(VALU_DEP_2) | instskip(NEXT) | instid1(VALU_DEP_2)
	v_fma_f64 v[30:31], -v[41:42], v[27:28], v[30:31]
	v_fma_f64 v[25:26], v[39:40], v[27:28], v[25:26]
	s_waitcnt lgkmcnt(0)
	s_delay_alu instid0(VALU_DEP_2) | instskip(NEXT) | instid1(VALU_DEP_2)
	v_fma_f64 v[27:28], v[43:44], v[47:48], v[30:31]
	v_fma_f64 v[30:31], v[45:46], v[47:48], v[25:26]
	s_delay_alu instid0(VALU_DEP_2) | instskip(NEXT) | instid1(VALU_DEP_2)
	v_fma_f64 v[25:26], -v[45:46], v[49:50], v[27:28]
	v_fma_f64 v[27:28], v[43:44], v[49:50], v[30:31]
	s_cbranch_scc1 .LBB9_34
; %bb.35:                               ;   in Loop: Header=BB9_13 Depth=1
	s_mov_b32 s35, s30
	s_and_not1_b32 vcc_lo, exec_lo, s33
	s_cbranch_vccz .LBB9_37
	s_branch .LBB9_39
.LBB9_36:                               ;   in Loop: Header=BB9_13 Depth=1
	s_mov_b32 s35, 0
	s_and_not1_b32 vcc_lo, exec_lo, s33
	s_cbranch_vccnz .LBB9_39
.LBB9_37:                               ;   in Loop: Header=BB9_13 Depth=1
	s_lshl_b32 s35, s35, 4
	s_delay_alu instid0(SALU_CYCLE_1)
	v_add_nc_u32_e32 v9, s35, v36
	v_add_nc_u32_e32 v29, s35, v37
	s_mov_b32 s35, s28
	.p2align	6
.LBB9_38:                               ;   Parent Loop BB9_13 Depth=1
                                        ; =>  This Inner Loop Header: Depth=2
	ds_load_b128 v[39:42], v29
	ds_load_b128 v[43:46], v9
	v_add_nc_u32_e32 v9, 16, v9
	v_add_nc_u32_e32 v29, 16, v29
	s_add_i32 s35, s35, -1
	s_delay_alu instid0(SALU_CYCLE_1) | instskip(SKIP_3) | instid1(VALU_DEP_2)
	s_cmp_lg_u32 s35, 0
	s_waitcnt lgkmcnt(0)
	v_fma_f64 v[25:26], v[39:40], v[43:44], v[25:26]
	v_fma_f64 v[27:28], v[41:42], v[43:44], v[27:28]
	v_fma_f64 v[25:26], -v[41:42], v[45:46], v[25:26]
	s_delay_alu instid0(VALU_DEP_2)
	v_fma_f64 v[27:28], v[39:40], v[45:46], v[27:28]
	s_cbranch_scc1 .LBB9_38
.LBB9_39:                               ;   in Loop: Header=BB9_13 Depth=1
	s_or_b32 exec_lo, exec_lo, s34
	s_and_saveexec_b32 s34, s27
	s_cbranch_execz .LBB9_11
; %bb.40:                               ;   in Loop: Header=BB9_13 Depth=1
	s_and_not1_b32 vcc_lo, exec_lo, s29
	s_cbranch_vccnz .LBB9_44
; %bb.41:                               ;   in Loop: Header=BB9_13 Depth=1
	v_mov_b32_e32 v9, v37
	v_mov_b32_e32 v29, v38
	s_mov_b32 s35, 0
.LBB9_42:                               ;   Parent Loop BB9_13 Depth=1
                                        ; =>  This Inner Loop Header: Depth=2
	ds_load_b128 v[39:42], v29
	ds_load_b128 v[43:46], v9
	ds_load_b128 v[47:50], v9 offset:16
	ds_load_b128 v[51:54], v29 offset:16
	s_add_i32 s35, s35, 8
	s_delay_alu instid0(SALU_CYCLE_1) | instskip(SKIP_3) | instid1(VALU_DEP_2)
	s_cmp_lg_u32 s30, s35
	s_waitcnt lgkmcnt(2)
	v_fma_f64 v[14:15], v[43:44], v[39:40], v[14:15]
	v_fma_f64 v[12:13], v[45:46], v[39:40], v[12:13]
	v_fma_f64 v[14:15], -v[45:46], v[41:42], v[14:15]
	s_delay_alu instid0(VALU_DEP_2) | instskip(SKIP_1) | instid1(VALU_DEP_2)
	v_fma_f64 v[12:13], v[43:44], v[41:42], v[12:13]
	s_waitcnt lgkmcnt(0)
	v_fma_f64 v[14:15], v[47:48], v[51:52], v[14:15]
	s_delay_alu instid0(VALU_DEP_2) | instskip(NEXT) | instid1(VALU_DEP_2)
	v_fma_f64 v[12:13], v[49:50], v[51:52], v[12:13]
	v_fma_f64 v[30:31], -v[49:50], v[53:54], v[14:15]
	s_delay_alu instid0(VALU_DEP_2)
	v_fma_f64 v[51:52], v[47:48], v[53:54], v[12:13]
	ds_load_b128 v[12:15], v29 offset:32
	ds_load_b128 v[39:42], v9 offset:32
	ds_load_b128 v[43:46], v9 offset:48
	ds_load_b128 v[47:50], v29 offset:48
	s_waitcnt lgkmcnt(2)
	v_fma_f64 v[30:31], v[39:40], v[12:13], v[30:31]
	v_fma_f64 v[12:13], v[41:42], v[12:13], v[51:52]
	s_delay_alu instid0(VALU_DEP_2) | instskip(NEXT) | instid1(VALU_DEP_2)
	v_fma_f64 v[30:31], -v[41:42], v[14:15], v[30:31]
	v_fma_f64 v[12:13], v[39:40], v[14:15], v[12:13]
	s_waitcnt lgkmcnt(0)
	s_delay_alu instid0(VALU_DEP_2) | instskip(NEXT) | instid1(VALU_DEP_2)
	v_fma_f64 v[14:15], v[43:44], v[47:48], v[30:31]
	v_fma_f64 v[12:13], v[45:46], v[47:48], v[12:13]
	s_delay_alu instid0(VALU_DEP_2) | instskip(NEXT) | instid1(VALU_DEP_2)
	v_fma_f64 v[30:31], -v[45:46], v[49:50], v[14:15]
	v_fma_f64 v[51:52], v[43:44], v[49:50], v[12:13]
	ds_load_b128 v[12:15], v29 offset:64
	ds_load_b128 v[39:42], v9 offset:64
	;; [unrolled: 1-line block ×4, first 2 shown]
	s_waitcnt lgkmcnt(2)
	v_fma_f64 v[30:31], v[39:40], v[12:13], v[30:31]
	v_fma_f64 v[12:13], v[41:42], v[12:13], v[51:52]
	s_delay_alu instid0(VALU_DEP_2) | instskip(NEXT) | instid1(VALU_DEP_2)
	v_fma_f64 v[30:31], -v[41:42], v[14:15], v[30:31]
	v_fma_f64 v[12:13], v[39:40], v[14:15], v[12:13]
	s_waitcnt lgkmcnt(0)
	s_delay_alu instid0(VALU_DEP_2) | instskip(NEXT) | instid1(VALU_DEP_2)
	v_fma_f64 v[14:15], v[43:44], v[47:48], v[30:31]
	v_fma_f64 v[12:13], v[45:46], v[47:48], v[12:13]
	s_delay_alu instid0(VALU_DEP_2) | instskip(NEXT) | instid1(VALU_DEP_2)
	v_fma_f64 v[30:31], -v[45:46], v[49:50], v[14:15]
	v_fma_f64 v[51:52], v[43:44], v[49:50], v[12:13]
	ds_load_b128 v[12:15], v29 offset:96
	ds_load_b128 v[39:42], v9 offset:96
	;; [unrolled: 1-line block ×4, first 2 shown]
	v_add_nc_u32_e32 v29, 0x80, v29
	v_add_nc_u32_e32 v9, 0x80, v9
	s_waitcnt lgkmcnt(2)
	v_fma_f64 v[30:31], v[39:40], v[12:13], v[30:31]
	v_fma_f64 v[12:13], v[41:42], v[12:13], v[51:52]
	s_delay_alu instid0(VALU_DEP_2) | instskip(NEXT) | instid1(VALU_DEP_2)
	v_fma_f64 v[30:31], -v[41:42], v[14:15], v[30:31]
	v_fma_f64 v[12:13], v[39:40], v[14:15], v[12:13]
	s_waitcnt lgkmcnt(0)
	s_delay_alu instid0(VALU_DEP_2) | instskip(NEXT) | instid1(VALU_DEP_2)
	v_fma_f64 v[14:15], v[43:44], v[47:48], v[30:31]
	v_fma_f64 v[12:13], v[45:46], v[47:48], v[12:13]
	s_delay_alu instid0(VALU_DEP_2) | instskip(NEXT) | instid1(VALU_DEP_2)
	v_fma_f64 v[14:15], -v[45:46], v[49:50], v[14:15]
	v_fma_f64 v[12:13], v[43:44], v[49:50], v[12:13]
	s_cbranch_scc1 .LBB9_42
; %bb.43:                               ;   in Loop: Header=BB9_13 Depth=1
	s_mov_b32 s35, s30
	s_and_not1_b32 vcc_lo, exec_lo, s33
	s_cbranch_vccz .LBB9_45
	s_branch .LBB9_11
.LBB9_44:                               ;   in Loop: Header=BB9_13 Depth=1
	s_mov_b32 s35, 0
	s_and_not1_b32 vcc_lo, exec_lo, s33
	s_cbranch_vccnz .LBB9_11
.LBB9_45:                               ;   in Loop: Header=BB9_13 Depth=1
	s_lshl_b32 s35, s35, 4
	s_delay_alu instid0(SALU_CYCLE_1)
	v_add_nc_u32_e32 v9, s35, v38
	v_add_nc_u32_e32 v29, s35, v37
	s_mov_b32 s35, s28
	.p2align	6
.LBB9_46:                               ;   Parent Loop BB9_13 Depth=1
                                        ; =>  This Inner Loop Header: Depth=2
	ds_load_b128 v[39:42], v29
	ds_load_b128 v[43:46], v9
	v_add_nc_u32_e32 v9, 16, v9
	v_add_nc_u32_e32 v29, 16, v29
	s_add_i32 s35, s35, -1
	s_delay_alu instid0(SALU_CYCLE_1) | instskip(SKIP_3) | instid1(VALU_DEP_2)
	s_cmp_lg_u32 s35, 0
	s_waitcnt lgkmcnt(0)
	v_fma_f64 v[14:15], v[39:40], v[43:44], v[14:15]
	v_fma_f64 v[12:13], v[41:42], v[43:44], v[12:13]
	v_fma_f64 v[14:15], -v[41:42], v[45:46], v[14:15]
	s_delay_alu instid0(VALU_DEP_2)
	v_fma_f64 v[12:13], v[39:40], v[45:46], v[12:13]
	s_cbranch_scc1 .LBB9_46
	s_branch .LBB9_11
.LBB9_47:
	s_delay_alu instid0(VALU_DEP_1) | instskip(NEXT) | instid1(SALU_CYCLE_1)
	s_and_b32 s4, s13, s4
	s_and_b32 exec_lo, exec_lo, s4
	s_cbranch_execz .LBB9_58
; %bb.48:
	s_waitcnt vmcnt(0)
	v_cmp_neq_f64_e32 vcc_lo, 0, v[4:5]
	v_cmp_neq_f64_e64 s4, 0, v[6:7]
	v_mad_u64_u32 v[16:17], null, s14, s10, v[10:11]
	s_load_b64 s[8:9], s[2:3], 0x68
	s_delay_alu instid0(VALU_DEP_1) | instskip(NEXT) | instid1(VALU_DEP_1)
	v_ashrrev_i32_e32 v17, 31, v16
	v_lshlrev_b64 v[9:10], 4, v[16:17]
	s_delay_alu instid0(VALU_DEP_1) | instskip(NEXT) | instid1(VALU_DEP_1)
	v_add_co_u32 v9, s2, s6, v9
	v_add_co_ci_u32_e64 v10, s2, s7, v10, s2
	s_or_b32 s2, vcc_lo, s4
	s_and_saveexec_b32 s3, s1
	s_cbranch_execz .LBB9_53
; %bb.49:
	s_and_saveexec_b32 s1, s2
	s_delay_alu instid0(SALU_CYCLE_1)
	s_xor_b32 s1, exec_lo, s1
	s_cbranch_execz .LBB9_51
; %bb.50:
	v_ashrrev_i32_e32 v18, 31, v11
	s_waitcnt lgkmcnt(0)
	v_mul_lo_u32 v19, v11, s9
	v_mad_u64_u32 v[16:17], null, v11, s8, 0
	v_mul_f64 v[22:23], v[27:28], -v[2:3]
	v_mul_lo_u32 v11, v18, s8
	v_mul_f64 v[27:28], v[0:1], v[27:28]
	s_delay_alu instid0(VALU_DEP_2) | instskip(NEXT) | instid1(VALU_DEP_1)
	v_add3_u32 v17, v17, v19, v11
                                        ; implicit-def: $vgpr11
	v_lshlrev_b64 v[16:17], 4, v[16:17]
	s_delay_alu instid0(VALU_DEP_1) | instskip(NEXT) | instid1(VALU_DEP_2)
	v_add_co_u32 v20, vcc_lo, v9, v16
	v_add_co_ci_u32_e32 v21, vcc_lo, v10, v17, vcc_lo
	global_load_b128 v[16:19], v[20:21], off
	v_fma_f64 v[22:23], v[0:1], v[25:26], v[22:23]
	v_fma_f64 v[24:25], v[2:3], v[25:26], v[27:28]
                                        ; implicit-def: $vgpr27_vgpr28
	s_waitcnt vmcnt(0)
	s_delay_alu instid0(VALU_DEP_2) | instskip(NEXT) | instid1(VALU_DEP_2)
	v_fma_f64 v[22:23], v[4:5], v[16:17], v[22:23]
	v_fma_f64 v[24:25], v[6:7], v[16:17], v[24:25]
	s_delay_alu instid0(VALU_DEP_2) | instskip(NEXT) | instid1(VALU_DEP_2)
	v_fma_f64 v[16:17], -v[6:7], v[18:19], v[22:23]
	v_fma_f64 v[18:19], v[4:5], v[18:19], v[24:25]
                                        ; implicit-def: $vgpr25_vgpr26
	global_store_b128 v[20:21], v[16:19], off
.LBB9_51:
	s_and_not1_saveexec_b32 s1, s1
	s_cbranch_execz .LBB9_53
; %bb.52:
	v_mul_f64 v[16:17], v[27:28], -v[2:3]
	v_mul_f64 v[18:19], v[0:1], v[27:28]
	v_ashrrev_i32_e32 v20, 31, v11
	s_waitcnt lgkmcnt(0)
	v_mul_lo_u32 v22, v11, s9
	s_delay_alu instid0(VALU_DEP_2) | instskip(SKIP_1) | instid1(VALU_DEP_1)
	v_mul_lo_u32 v23, v20, s8
	v_mad_u64_u32 v[20:21], null, v11, s8, 0
	v_add3_u32 v21, v21, v22, v23
	s_delay_alu instid0(VALU_DEP_1) | instskip(NEXT) | instid1(VALU_DEP_1)
	v_lshlrev_b64 v[20:21], 4, v[20:21]
	v_add_co_u32 v20, vcc_lo, v9, v20
	s_delay_alu instid0(VALU_DEP_2)
	v_add_co_ci_u32_e32 v21, vcc_lo, v10, v21, vcc_lo
	v_fma_f64 v[16:17], v[0:1], v[25:26], v[16:17]
	v_fma_f64 v[18:19], v[2:3], v[25:26], v[18:19]
	global_store_b128 v[20:21], v[16:19], off
.LBB9_53:
	s_or_b32 exec_lo, exec_lo, s3
	s_delay_alu instid0(SALU_CYCLE_1)
	s_and_b32 exec_lo, exec_lo, s0
	s_cbranch_execz .LBB9_58
; %bb.54:
	s_and_saveexec_b32 s0, s2
	s_delay_alu instid0(SALU_CYCLE_1)
	s_xor_b32 s0, exec_lo, s0
	s_cbranch_execz .LBB9_56
; %bb.55:
	v_ashrrev_i32_e32 v11, 31, v8
	s_waitcnt lgkmcnt(0)
	v_mul_lo_u32 v18, v8, s9
	v_mad_u64_u32 v[16:17], null, v8, s8, 0
	s_delay_alu instid0(VALU_DEP_3) | instskip(NEXT) | instid1(VALU_DEP_1)
	v_mul_lo_u32 v8, v11, s8
	v_add3_u32 v17, v17, v18, v8
	v_mul_f64 v[18:19], v[12:13], -v[2:3]
	v_mul_f64 v[12:13], v[0:1], v[12:13]
	s_delay_alu instid0(VALU_DEP_3) | instskip(NEXT) | instid1(VALU_DEP_1)
	v_lshlrev_b64 v[16:17], 4, v[16:17]
	v_add_co_u32 v16, vcc_lo, v9, v16
	s_delay_alu instid0(VALU_DEP_2) | instskip(SKIP_4) | instid1(VALU_DEP_2)
	v_add_co_ci_u32_e32 v17, vcc_lo, v10, v17, vcc_lo
	global_load_b128 v[8:11], v[16:17], off
	v_fma_f64 v[0:1], v[0:1], v[14:15], v[18:19]
	v_fma_f64 v[2:3], v[2:3], v[14:15], v[12:13]
                                        ; implicit-def: $vgpr12_vgpr13
                                        ; implicit-def: $vgpr14_vgpr15
	s_waitcnt vmcnt(0)
	v_fma_f64 v[0:1], v[4:5], v[8:9], v[0:1]
	s_delay_alu instid0(VALU_DEP_2) | instskip(NEXT) | instid1(VALU_DEP_2)
	v_fma_f64 v[2:3], v[6:7], v[8:9], v[2:3]
                                        ; implicit-def: $vgpr8
                                        ; implicit-def: $vgpr9
	v_fma_f64 v[0:1], -v[6:7], v[10:11], v[0:1]
	s_delay_alu instid0(VALU_DEP_2)
	v_fma_f64 v[2:3], v[4:5], v[10:11], v[2:3]
                                        ; implicit-def: $vgpr10
	global_store_b128 v[16:17], v[0:3], off
                                        ; implicit-def: $vgpr2_vgpr3
                                        ; implicit-def: $vgpr0_vgpr1
.LBB9_56:
	s_and_not1_saveexec_b32 s0, s0
	s_cbranch_execz .LBB9_58
; %bb.57:
	v_mul_f64 v[4:5], v[12:13], -v[2:3]
	v_mul_f64 v[6:7], v[0:1], v[12:13]
	s_delay_alu instid0(VALU_DEP_2) | instskip(NEXT) | instid1(VALU_DEP_2)
	v_fma_f64 v[0:1], v[0:1], v[14:15], v[4:5]
	v_fma_f64 v[2:3], v[2:3], v[14:15], v[6:7]
	v_ashrrev_i32_e32 v4, 31, v8
	s_waitcnt lgkmcnt(0)
	v_mul_lo_u32 v6, v8, s9
	s_delay_alu instid0(VALU_DEP_2) | instskip(SKIP_1) | instid1(VALU_DEP_1)
	v_mul_lo_u32 v7, v4, s8
	v_mad_u64_u32 v[4:5], null, v8, s8, 0
	v_add3_u32 v5, v5, v6, v7
	s_delay_alu instid0(VALU_DEP_1) | instskip(NEXT) | instid1(VALU_DEP_1)
	v_lshlrev_b64 v[4:5], 4, v[4:5]
	v_add_co_u32 v4, vcc_lo, v9, v4
	s_delay_alu instid0(VALU_DEP_2)
	v_add_co_ci_u32_e32 v5, vcc_lo, v10, v5, vcc_lo
	global_store_b128 v[4:5], v[0:3], off
.LBB9_58:
	s_nop 0
	s_sendmsg sendmsg(MSG_DEALLOC_VGPRS)
	s_endpgm
	.section	.rodata,"a",@progbits
	.p2align	6, 0x0
	.amdhsa_kernel _ZN9rocsparseL33gebsrmm_large_blockdim_kernel_extILi8ELi8ELi2E21rocsparse_complex_numIdEEEv20rocsparse_direction_20rocsparse_operation_iiNS_24const_host_device_scalarIT2_EEPKiS9_PKS6_iiSB_lS7_PS6_l21rocsparse_index_base_b
		.amdhsa_group_segment_fixed_size 4096
		.amdhsa_private_segment_fixed_size 0
		.amdhsa_kernarg_size 120
		.amdhsa_user_sgpr_count 14
		.amdhsa_user_sgpr_dispatch_ptr 1
		.amdhsa_user_sgpr_queue_ptr 0
		.amdhsa_user_sgpr_kernarg_segment_ptr 1
		.amdhsa_user_sgpr_dispatch_id 0
		.amdhsa_user_sgpr_private_segment_size 0
		.amdhsa_wavefront_size32 1
		.amdhsa_uses_dynamic_stack 0
		.amdhsa_enable_private_segment 0
		.amdhsa_system_sgpr_workgroup_id_x 1
		.amdhsa_system_sgpr_workgroup_id_y 1
		.amdhsa_system_sgpr_workgroup_id_z 0
		.amdhsa_system_sgpr_workgroup_info 0
		.amdhsa_system_vgpr_workitem_id 2
		.amdhsa_next_free_vgpr 55
		.amdhsa_next_free_sgpr 38
		.amdhsa_reserve_vcc 1
		.amdhsa_float_round_mode_32 0
		.amdhsa_float_round_mode_16_64 0
		.amdhsa_float_denorm_mode_32 3
		.amdhsa_float_denorm_mode_16_64 3
		.amdhsa_dx10_clamp 1
		.amdhsa_ieee_mode 1
		.amdhsa_fp16_overflow 0
		.amdhsa_workgroup_processor_mode 1
		.amdhsa_memory_ordered 1
		.amdhsa_forward_progress 0
		.amdhsa_shared_vgpr_count 0
		.amdhsa_exception_fp_ieee_invalid_op 0
		.amdhsa_exception_fp_denorm_src 0
		.amdhsa_exception_fp_ieee_div_zero 0
		.amdhsa_exception_fp_ieee_overflow 0
		.amdhsa_exception_fp_ieee_underflow 0
		.amdhsa_exception_fp_ieee_inexact 0
		.amdhsa_exception_int_div_zero 0
	.end_amdhsa_kernel
	.section	.text._ZN9rocsparseL33gebsrmm_large_blockdim_kernel_extILi8ELi8ELi2E21rocsparse_complex_numIdEEEv20rocsparse_direction_20rocsparse_operation_iiNS_24const_host_device_scalarIT2_EEPKiS9_PKS6_iiSB_lS7_PS6_l21rocsparse_index_base_b,"axG",@progbits,_ZN9rocsparseL33gebsrmm_large_blockdim_kernel_extILi8ELi8ELi2E21rocsparse_complex_numIdEEEv20rocsparse_direction_20rocsparse_operation_iiNS_24const_host_device_scalarIT2_EEPKiS9_PKS6_iiSB_lS7_PS6_l21rocsparse_index_base_b,comdat
.Lfunc_end9:
	.size	_ZN9rocsparseL33gebsrmm_large_blockdim_kernel_extILi8ELi8ELi2E21rocsparse_complex_numIdEEEv20rocsparse_direction_20rocsparse_operation_iiNS_24const_host_device_scalarIT2_EEPKiS9_PKS6_iiSB_lS7_PS6_l21rocsparse_index_base_b, .Lfunc_end9-_ZN9rocsparseL33gebsrmm_large_blockdim_kernel_extILi8ELi8ELi2E21rocsparse_complex_numIdEEEv20rocsparse_direction_20rocsparse_operation_iiNS_24const_host_device_scalarIT2_EEPKiS9_PKS6_iiSB_lS7_PS6_l21rocsparse_index_base_b
                                        ; -- End function
	.section	.AMDGPU.csdata,"",@progbits
; Kernel info:
; codeLenInByte = 3452
; NumSgprs: 40
; NumVgprs: 55
; ScratchSize: 0
; MemoryBound: 0
; FloatMode: 240
; IeeeMode: 1
; LDSByteSize: 4096 bytes/workgroup (compile time only)
; SGPRBlocks: 4
; VGPRBlocks: 6
; NumSGPRsForWavesPerEU: 40
; NumVGPRsForWavesPerEU: 55
; Occupancy: 16
; WaveLimiterHint : 0
; COMPUTE_PGM_RSRC2:SCRATCH_EN: 0
; COMPUTE_PGM_RSRC2:USER_SGPR: 14
; COMPUTE_PGM_RSRC2:TRAP_HANDLER: 0
; COMPUTE_PGM_RSRC2:TGID_X_EN: 1
; COMPUTE_PGM_RSRC2:TGID_Y_EN: 1
; COMPUTE_PGM_RSRC2:TGID_Z_EN: 0
; COMPUTE_PGM_RSRC2:TIDIG_COMP_CNT: 2
	.section	.text._ZN9rocsparseL33gebsrmm_large_blockdim_kernel_extILi16ELi16ELi2E21rocsparse_complex_numIdEEEv20rocsparse_direction_20rocsparse_operation_iiNS_24const_host_device_scalarIT2_EEPKiS9_PKS6_iiSB_lS7_PS6_l21rocsparse_index_base_b,"axG",@progbits,_ZN9rocsparseL33gebsrmm_large_blockdim_kernel_extILi16ELi16ELi2E21rocsparse_complex_numIdEEEv20rocsparse_direction_20rocsparse_operation_iiNS_24const_host_device_scalarIT2_EEPKiS9_PKS6_iiSB_lS7_PS6_l21rocsparse_index_base_b,comdat
	.globl	_ZN9rocsparseL33gebsrmm_large_blockdim_kernel_extILi16ELi16ELi2E21rocsparse_complex_numIdEEEv20rocsparse_direction_20rocsparse_operation_iiNS_24const_host_device_scalarIT2_EEPKiS9_PKS6_iiSB_lS7_PS6_l21rocsparse_index_base_b ; -- Begin function _ZN9rocsparseL33gebsrmm_large_blockdim_kernel_extILi16ELi16ELi2E21rocsparse_complex_numIdEEEv20rocsparse_direction_20rocsparse_operation_iiNS_24const_host_device_scalarIT2_EEPKiS9_PKS6_iiSB_lS7_PS6_l21rocsparse_index_base_b
	.p2align	8
	.type	_ZN9rocsparseL33gebsrmm_large_blockdim_kernel_extILi16ELi16ELi2E21rocsparse_complex_numIdEEEv20rocsparse_direction_20rocsparse_operation_iiNS_24const_host_device_scalarIT2_EEPKiS9_PKS6_iiSB_lS7_PS6_l21rocsparse_index_base_b,@function
_ZN9rocsparseL33gebsrmm_large_blockdim_kernel_extILi16ELi16ELi2E21rocsparse_complex_numIdEEEv20rocsparse_direction_20rocsparse_operation_iiNS_24const_host_device_scalarIT2_EEPKiS9_PKS6_iiSB_lS7_PS6_l21rocsparse_index_base_b: ; @_ZN9rocsparseL33gebsrmm_large_blockdim_kernel_extILi16ELi16ELi2E21rocsparse_complex_numIdEEEv20rocsparse_direction_20rocsparse_operation_iiNS_24const_host_device_scalarIT2_EEPKiS9_PKS6_iiSB_lS7_PS6_l21rocsparse_index_base_b
; %bb.0:
	s_clause 0x1
	s_load_b64 s[12:13], s[2:3], 0x70
	s_load_b128 s[4:7], s[2:3], 0x10
	s_load_b64 s[16:17], s[0:1], 0x4
	s_mov_b64 s[0:1], src_shared_base
	v_and_b32_e32 v10, 0x3ff, v0
	s_load_b128 s[8:11], s[2:3], 0x48
	v_bfe_u32 v16, v0, 10, 10
	v_bfe_u32 v0, v0, 20, 10
	s_waitcnt lgkmcnt(0)
	s_bitcmp1_b32 s13, 0
	s_cselect_b32 s0, -1, 0
	s_delay_alu instid0(SALU_CYCLE_1) | instskip(SKIP_4) | instid1(SALU_CYCLE_1)
	s_and_b32 vcc_lo, s0, exec_lo
	s_cselect_b32 s13, s1, s5
	s_lshr_b32 s16, s16, 16
	v_mov_b32_e32 v5, s13
	s_mul_i32 s16, s16, s17
	v_mul_lo_u32 v1, s16, v10
	s_delay_alu instid0(VALU_DEP_1) | instskip(SKIP_2) | instid1(VALU_DEP_2)
	v_mad_u32_u24 v1, v16, s17, v1
	s_load_b64 s[16:17], s[2:3], 0x58
	v_dual_mov_b32 v2, s10 :: v_dual_mov_b32 v3, s11
	v_add_lshl_u32 v6, v1, v0, 3
	v_dual_mov_b32 v0, s4 :: v_dual_mov_b32 v1, s5
	s_delay_alu instid0(VALU_DEP_2)
	v_add_nc_u32_e32 v4, 0x3800, v6
	ds_store_2addr_stride64_b64 v6, v[2:3], v[0:1] offset0:24 offset1:28
	v_dual_mov_b32 v2, s6 :: v_dual_mov_b32 v3, s7
	v_cndmask_b32_e64 v4, s4, v4, s0
	s_xor_b32 s6, s0, -1
	flat_load_b64 v[0:1], v[4:5]
	v_add_nc_u32_e32 v4, 0x3000, v6
	s_cbranch_vccnz .LBB10_2
; %bb.1:
	v_dual_mov_b32 v2, s4 :: v_dual_mov_b32 v3, s5
	flat_load_b64 v[2:3], v[2:3] offset:8
.LBB10_2:
	s_and_b32 s4, s0, exec_lo
	s_cselect_b32 s1, s1, s11
	s_delay_alu instid0(VALU_DEP_1)
	v_cndmask_b32_e64 v4, s10, v4, s0
	s_waitcnt lgkmcnt(0)
	v_dual_mov_b32 v5, s1 :: v_dual_mov_b32 v6, s16
	v_mov_b32_e32 v7, s17
	s_and_not1_b32 vcc_lo, exec_lo, s6
	flat_load_b64 v[4:5], v[4:5]
	s_cbranch_vccnz .LBB10_4
; %bb.3:
	v_dual_mov_b32 v6, s10 :: v_dual_mov_b32 v7, s11
	flat_load_b64 v[6:7], v[6:7] offset:8
.LBB10_4:
	s_waitcnt vmcnt(1)
	v_cmp_eq_f64_e32 vcc_lo, 0, v[0:1]
	v_cmp_eq_f64_e64 s0, 0, v[2:3]
	s_delay_alu instid0(VALU_DEP_1)
	s_and_b32 s4, vcc_lo, s0
	s_mov_b32 s0, -1
	s_and_saveexec_b32 s1, s4
	s_cbranch_execz .LBB10_6
; %bb.5:
	s_waitcnt vmcnt(0) lgkmcnt(0)
	v_cmp_neq_f64_e32 vcc_lo, 1.0, v[4:5]
	v_cmp_neq_f64_e64 s0, 0, v[6:7]
	s_delay_alu instid0(VALU_DEP_1) | instskip(NEXT) | instid1(SALU_CYCLE_1)
	s_or_b32 s0, vcc_lo, s0
	s_or_not1_b32 s0, s0, exec_lo
.LBB10_6:
	s_or_b32 exec_lo, exec_lo, s1
	s_and_saveexec_b32 s1, s0
	s_cbranch_execz .LBB10_58
; %bb.7:
	s_load_b128 s[20:23], s[2:3], 0x0
	s_mov_b32 s26, 0
	s_waitcnt lgkmcnt(0)
	s_cmp_lt_i32 s14, s22
	s_cselect_b32 s13, -1, 0
	s_cmp_ge_i32 s14, s22
	s_mov_b32 s22, 0
	s_cbranch_scc1 .LBB10_9
; %bb.8:
	s_load_b64 s[4:5], s[2:3], 0x20
	s_mov_b32 s0, s15
	s_ashr_i32 s15, s14, 31
	s_delay_alu instid0(SALU_CYCLE_1)
	s_lshl_b64 s[6:7], s[14:15], 2
	s_mov_b32 s15, s0
	s_waitcnt lgkmcnt(0)
	s_add_u32 s0, s4, s6
	s_addc_u32 s1, s5, s7
	s_load_b64 s[0:1], s[0:1], 0x0
	s_waitcnt lgkmcnt(0)
	s_sub_i32 s22, s0, s12
	s_sub_i32 s26, s1, s12
.LBB10_9:
	s_clause 0x1
	s_load_b64 s[10:11], s[2:3], 0x38
	s_load_b64 s[6:7], s[2:3], 0x60
	v_lshl_add_u32 v11, s15, 5, v16
	v_mov_b32_e32 v12, 0
	v_mov_b32_e32 v13, 0
	s_cmp_ge_i32 s22, s26
	s_delay_alu instid0(VALU_DEP_3) | instskip(SKIP_1) | instid1(VALU_DEP_3)
	v_add_nc_u32_e32 v8, 16, v11
	v_cmp_gt_i32_e64 s1, s23, v11
	v_dual_mov_b32 v15, v13 :: v_dual_mov_b32 v14, v12
	v_dual_mov_b32 v28, v13 :: v_dual_mov_b32 v27, v12
	s_delay_alu instid0(VALU_DEP_4)
	v_cmp_gt_i32_e64 s0, s23, v8
	v_dual_mov_b32 v26, v13 :: v_dual_mov_b32 v25, v12
	s_waitcnt lgkmcnt(0)
	v_cmp_gt_i32_e64 s4, s10, v10
	s_cbranch_scc1 .LBB10_47
; %bb.10:
	v_cmp_gt_i32_e32 vcc_lo, s11, v16
	v_mad_u64_u32 v[13:14], null, v16, s10, v[10:11]
	v_ashrrev_i32_e32 v9, 31, v8
	v_ashrrev_i32_e32 v12, 31, v11
	s_and_b32 s15, s4, vcc_lo
	s_cmpk_lg_i32 s21, 0x6f
	s_clause 0x1
	s_load_b128 s[16:19], s[2:3], 0x28
	s_load_b64 s[24:25], s[2:3], 0x40
	s_cselect_b32 s21, -1, 0
	s_cmp_eq_u32 s20, 0
	v_mul_lo_u32 v20, v8, s9
	s_cselect_b32 vcc_lo, -1, 0
	v_lshlrev_b32_e32 v17, 4, v16
	v_mul_lo_u32 v25, v9, s8
	v_mad_u64_u32 v[23:24], null, v8, s8, 0
	v_mul_lo_u32 v19, v12, s8
	s_delay_alu instid0(VALU_DEP_4)
	v_mad_u64_u32 v[14:15], null, v10, s11, v[16:17]
	v_mul_lo_u32 v15, v11, s9
	v_mad_u64_u32 v[21:22], null, v11, s8, 0
	v_lshl_add_u32 v18, v10, 4, v16
	v_lshlrev_b32_e32 v36, 8, v16
	s_cmp_gt_i32 s11, 0
	v_cndmask_b32_e32 v16, v13, v14, vcc_lo
	v_add_lshl_u32 v33, v17, v10, 4
	v_add3_u32 v24, v24, v20, v25
	v_mov_b32_e32 v25, 0
	v_add3_u32 v22, v22, v15, v19
	s_delay_alu instid0(VALU_DEP_4)
	v_dual_mov_b32 v26, 0 :: v_dual_add_nc_u32 v35, 0x1000, v33
	s_cselect_b32 s23, -1, 0
	s_and_b32 s28, s11, 7
	s_and_b32 s20, s1, s23
	;; [unrolled: 1-line block ×3, first 2 shown]
	s_cmp_gt_u32 s11, 7
	v_lshl_add_u32 v34, v18, 4, 0x2000
	v_lshlrev_b64 v[17:18], 4, v[11:12]
	v_lshlrev_b64 v[19:20], 4, v[8:9]
	;; [unrolled: 1-line block ×4, first 2 shown]
	v_mov_b32_e32 v28, v26
	v_cmp_gt_i32_e64 s5, s11, v10
	s_cselect_b32 s29, -1, 0
	s_and_b32 s30, s11, 0x7ffffff8
	v_lshl_add_u32 v37, v10, 8, 0x2000
	v_dual_mov_b32 v27, v25 :: v_dual_add_nc_u32 v38, 0x1000, v36
	v_dual_mov_b32 v14, v25 :: v_dual_mov_b32 v15, v26
	v_dual_mov_b32 v12, v25 :: v_dual_mov_b32 v13, v26
	s_cmp_lg_u32 s28, 0
	s_mul_i32 s31, s11, s10
	s_cselect_b32 s33, -1, 0
	s_branch .LBB10_13
.LBB10_11:                              ;   in Loop: Header=BB10_13 Depth=1
	s_or_b32 exec_lo, exec_lo, s34
.LBB10_12:                              ;   in Loop: Header=BB10_13 Depth=1
	s_delay_alu instid0(SALU_CYCLE_1) | instskip(SKIP_1) | instid1(SALU_CYCLE_1)
	s_or_b32 exec_lo, exec_lo, s23
	s_add_i32 s22, s22, 1
	s_cmp_ge_i32 s22, s26
	s_barrier
	buffer_gl0_inv
	s_cbranch_scc1 .LBB10_47
.LBB10_13:                              ; =>This Loop Header: Depth=1
                                        ;     Child Loop BB10_34 Depth 2
                                        ;     Child Loop BB10_38 Depth 2
                                        ;     Child Loop BB10_42 Depth 2
                                        ;     Child Loop BB10_46 Depth 2
	s_and_saveexec_b32 s34, s5
	s_cbranch_execz .LBB10_28
; %bb.14:                               ;   in Loop: Header=BB10_13 Depth=1
	s_ashr_i32 s23, s22, 31
	s_delay_alu instid0(SALU_CYCLE_1)
	s_lshl_b64 s[36:37], s[22:23], 2
	s_waitcnt lgkmcnt(0)
	s_add_u32 s36, s16, s36
	s_addc_u32 s37, s17, s37
	s_and_not1_b32 vcc_lo, exec_lo, s21
	s_load_b32 s23, s[36:37], 0x0
	s_waitcnt lgkmcnt(0)
	s_sub_i32 s23, s23, s12
	s_delay_alu instid0(SALU_CYCLE_1) | instskip(NEXT) | instid1(VALU_DEP_1)
	v_mad_u64_u32 v[29:30], null, s23, s11, v[10:11]
	v_ashrrev_i32_e32 v30, 31, v29
	s_cbranch_vccnz .LBB10_20
; %bb.15:                               ;   in Loop: Header=BB10_13 Depth=1
	s_delay_alu instid0(VALU_DEP_1) | instskip(SKIP_2) | instid1(VALU_DEP_1)
	v_mul_lo_u32 v9, v30, s8
	v_mul_lo_u32 v39, v29, s9
	v_mad_u64_u32 v[31:32], null, v29, s8, 0
	v_add3_u32 v32, v32, v39, v9
	s_delay_alu instid0(VALU_DEP_1) | instskip(NEXT) | instid1(VALU_DEP_1)
	v_lshlrev_b64 v[31:32], 4, v[31:32]
	v_add_co_u32 v9, vcc_lo, s24, v31
	s_delay_alu instid0(VALU_DEP_2)
	v_add_co_ci_u32_e32 v39, vcc_lo, s25, v32, vcc_lo
	s_and_saveexec_b32 s23, s1
	s_cbranch_execz .LBB10_17
; %bb.16:                               ;   in Loop: Header=BB10_13 Depth=1
	s_delay_alu instid0(VALU_DEP_2) | instskip(NEXT) | instid1(VALU_DEP_2)
	v_add_co_u32 v31, vcc_lo, v9, v17
	v_add_co_ci_u32_e32 v32, vcc_lo, v39, v18, vcc_lo
	global_load_b128 v[40:43], v[31:32], off
	s_waitcnt vmcnt(0)
	ds_store_2addr_b64 v33, v[40:41], v[42:43] offset1:1
.LBB10_17:                              ;   in Loop: Header=BB10_13 Depth=1
	s_or_b32 exec_lo, exec_lo, s23
	s_mov_b32 s35, 0
	s_mov_b32 s23, 0
                                        ; implicit-def: $vgpr31_vgpr32
	s_and_saveexec_b32 s36, s0
	s_delay_alu instid0(SALU_CYCLE_1)
	s_xor_b32 s36, exec_lo, s36
; %bb.18:                               ;   in Loop: Header=BB10_13 Depth=1
	v_add_co_u32 v31, vcc_lo, v9, v19
	v_add_co_ci_u32_e32 v32, vcc_lo, v39, v20, vcc_lo
	s_mov_b32 s23, exec_lo
; %bb.19:                               ;   in Loop: Header=BB10_13 Depth=1
	s_or_b32 exec_lo, exec_lo, s36
	s_delay_alu instid0(SALU_CYCLE_1)
	s_and_b32 vcc_lo, exec_lo, s35
	s_cbranch_vccnz .LBB10_21
	s_branch .LBB10_26
.LBB10_20:                              ;   in Loop: Header=BB10_13 Depth=1
	s_mov_b32 s23, 0
                                        ; implicit-def: $vgpr31_vgpr32
	s_cbranch_execz .LBB10_26
.LBB10_21:                              ;   in Loop: Header=BB10_13 Depth=1
	s_delay_alu instid0(VALU_DEP_1) | instskip(NEXT) | instid1(VALU_DEP_1)
	v_lshlrev_b64 v[29:30], 4, v[29:30]
	v_add_co_u32 v9, vcc_lo, s24, v29
	s_delay_alu instid0(VALU_DEP_2)
	v_add_co_ci_u32_e32 v29, vcc_lo, s25, v30, vcc_lo
	s_and_saveexec_b32 s35, s1
	s_cbranch_execz .LBB10_23
; %bb.22:                               ;   in Loop: Header=BB10_13 Depth=1
	s_delay_alu instid0(VALU_DEP_2) | instskip(NEXT) | instid1(VALU_DEP_2)
	v_add_co_u32 v30, vcc_lo, v9, v21
	v_add_co_ci_u32_e32 v31, vcc_lo, v29, v22, vcc_lo
	global_load_b128 v[39:42], v[30:31], off
	s_waitcnt vmcnt(0)
	ds_store_2addr_b64 v33, v[39:40], v[41:42] offset1:1
.LBB10_23:                              ;   in Loop: Header=BB10_13 Depth=1
	s_or_b32 exec_lo, exec_lo, s35
                                        ; implicit-def: $vgpr31_vgpr32
	s_and_saveexec_b32 s35, s0
; %bb.24:                               ;   in Loop: Header=BB10_13 Depth=1
	v_add_co_u32 v31, vcc_lo, v9, v23
	v_add_co_ci_u32_e32 v32, vcc_lo, v29, v24, vcc_lo
	s_or_b32 s23, s23, exec_lo
; %bb.25:                               ;   in Loop: Header=BB10_13 Depth=1
	s_or_b32 exec_lo, exec_lo, s35
.LBB10_26:                              ;   in Loop: Header=BB10_13 Depth=1
	s_delay_alu instid0(SALU_CYCLE_1)
	s_and_b32 exec_lo, exec_lo, s23
	s_cbranch_execz .LBB10_28
; %bb.27:                               ;   in Loop: Header=BB10_13 Depth=1
	global_load_b128 v[29:32], v[31:32], off
	s_waitcnt vmcnt(0)
	ds_store_2addr_b64 v35, v[29:30], v[31:32] offset1:1
.LBB10_28:                              ;   in Loop: Header=BB10_13 Depth=1
	s_or_b32 exec_lo, exec_lo, s34
	s_and_saveexec_b32 s23, s15
	s_cbranch_execz .LBB10_30
; %bb.29:                               ;   in Loop: Header=BB10_13 Depth=1
	v_mad_u64_u32 v[29:30], null, s31, s22, v[16:17]
	s_delay_alu instid0(VALU_DEP_1) | instskip(NEXT) | instid1(VALU_DEP_1)
	v_ashrrev_i32_e32 v30, 31, v29
	v_lshlrev_b64 v[29:30], 4, v[29:30]
	s_waitcnt lgkmcnt(0)
	s_delay_alu instid0(VALU_DEP_1) | instskip(NEXT) | instid1(VALU_DEP_2)
	v_add_co_u32 v29, vcc_lo, s18, v29
	v_add_co_ci_u32_e32 v30, vcc_lo, s19, v30, vcc_lo
	global_load_b128 v[29:32], v[29:30], off
	s_waitcnt vmcnt(0)
	ds_store_2addr_b64 v34, v[29:30], v[31:32] offset1:1
.LBB10_30:                              ;   in Loop: Header=BB10_13 Depth=1
	s_or_b32 exec_lo, exec_lo, s23
	s_waitcnt vmcnt(0) lgkmcnt(0)
	s_barrier
	buffer_gl0_inv
	s_and_saveexec_b32 s23, s4
	s_cbranch_execz .LBB10_12
; %bb.31:                               ;   in Loop: Header=BB10_13 Depth=1
	s_and_saveexec_b32 s34, s20
	s_cbranch_execz .LBB10_39
; %bb.32:                               ;   in Loop: Header=BB10_13 Depth=1
	s_and_not1_b32 vcc_lo, exec_lo, s29
	s_cbranch_vccnz .LBB10_36
; %bb.33:                               ;   in Loop: Header=BB10_13 Depth=1
	v_mov_b32_e32 v9, v37
	v_mov_b32_e32 v29, v36
	s_mov_b32 s35, 0
.LBB10_34:                              ;   Parent Loop BB10_13 Depth=1
                                        ; =>  This Inner Loop Header: Depth=2
	ds_load_b128 v[39:42], v29
	ds_load_b128 v[43:46], v9
	ds_load_b128 v[47:50], v9 offset:16
	ds_load_b128 v[51:54], v29 offset:16
	s_add_i32 s35, s35, 8
	s_delay_alu instid0(SALU_CYCLE_1) | instskip(SKIP_3) | instid1(VALU_DEP_2)
	s_cmp_lg_u32 s30, s35
	s_waitcnt lgkmcnt(2)
	v_fma_f64 v[25:26], v[43:44], v[39:40], v[25:26]
	v_fma_f64 v[27:28], v[45:46], v[39:40], v[27:28]
	v_fma_f64 v[25:26], -v[45:46], v[41:42], v[25:26]
	s_delay_alu instid0(VALU_DEP_2) | instskip(SKIP_1) | instid1(VALU_DEP_2)
	v_fma_f64 v[27:28], v[43:44], v[41:42], v[27:28]
	s_waitcnt lgkmcnt(0)
	v_fma_f64 v[25:26], v[47:48], v[51:52], v[25:26]
	s_delay_alu instid0(VALU_DEP_2) | instskip(NEXT) | instid1(VALU_DEP_2)
	v_fma_f64 v[27:28], v[49:50], v[51:52], v[27:28]
	v_fma_f64 v[30:31], -v[49:50], v[53:54], v[25:26]
	s_delay_alu instid0(VALU_DEP_2)
	v_fma_f64 v[51:52], v[47:48], v[53:54], v[27:28]
	ds_load_b128 v[25:28], v29 offset:32
	ds_load_b128 v[39:42], v9 offset:32
	;; [unrolled: 1-line block ×4, first 2 shown]
	s_waitcnt lgkmcnt(2)
	v_fma_f64 v[30:31], v[39:40], v[25:26], v[30:31]
	v_fma_f64 v[25:26], v[41:42], v[25:26], v[51:52]
	s_delay_alu instid0(VALU_DEP_2) | instskip(NEXT) | instid1(VALU_DEP_2)
	v_fma_f64 v[30:31], -v[41:42], v[27:28], v[30:31]
	v_fma_f64 v[25:26], v[39:40], v[27:28], v[25:26]
	s_waitcnt lgkmcnt(0)
	s_delay_alu instid0(VALU_DEP_2) | instskip(NEXT) | instid1(VALU_DEP_2)
	v_fma_f64 v[27:28], v[43:44], v[47:48], v[30:31]
	v_fma_f64 v[25:26], v[45:46], v[47:48], v[25:26]
	s_delay_alu instid0(VALU_DEP_2) | instskip(NEXT) | instid1(VALU_DEP_2)
	v_fma_f64 v[30:31], -v[45:46], v[49:50], v[27:28]
	v_fma_f64 v[51:52], v[43:44], v[49:50], v[25:26]
	ds_load_b128 v[25:28], v29 offset:64
	ds_load_b128 v[39:42], v9 offset:64
	;; [unrolled: 1-line block ×4, first 2 shown]
	s_waitcnt lgkmcnt(2)
	v_fma_f64 v[30:31], v[39:40], v[25:26], v[30:31]
	v_fma_f64 v[25:26], v[41:42], v[25:26], v[51:52]
	s_delay_alu instid0(VALU_DEP_2) | instskip(NEXT) | instid1(VALU_DEP_2)
	v_fma_f64 v[30:31], -v[41:42], v[27:28], v[30:31]
	v_fma_f64 v[25:26], v[39:40], v[27:28], v[25:26]
	s_waitcnt lgkmcnt(0)
	s_delay_alu instid0(VALU_DEP_2) | instskip(NEXT) | instid1(VALU_DEP_2)
	v_fma_f64 v[27:28], v[43:44], v[47:48], v[30:31]
	v_fma_f64 v[25:26], v[45:46], v[47:48], v[25:26]
	s_delay_alu instid0(VALU_DEP_2) | instskip(NEXT) | instid1(VALU_DEP_2)
	v_fma_f64 v[30:31], -v[45:46], v[49:50], v[27:28]
	v_fma_f64 v[51:52], v[43:44], v[49:50], v[25:26]
	ds_load_b128 v[25:28], v29 offset:96
	ds_load_b128 v[39:42], v9 offset:96
	;; [unrolled: 1-line block ×4, first 2 shown]
	v_add_nc_u32_e32 v29, 0x80, v29
	v_add_nc_u32_e32 v9, 0x80, v9
	s_waitcnt lgkmcnt(2)
	v_fma_f64 v[30:31], v[39:40], v[25:26], v[30:31]
	v_fma_f64 v[25:26], v[41:42], v[25:26], v[51:52]
	s_delay_alu instid0(VALU_DEP_2) | instskip(NEXT) | instid1(VALU_DEP_2)
	v_fma_f64 v[30:31], -v[41:42], v[27:28], v[30:31]
	v_fma_f64 v[25:26], v[39:40], v[27:28], v[25:26]
	s_waitcnt lgkmcnt(0)
	s_delay_alu instid0(VALU_DEP_2) | instskip(NEXT) | instid1(VALU_DEP_2)
	v_fma_f64 v[27:28], v[43:44], v[47:48], v[30:31]
	v_fma_f64 v[30:31], v[45:46], v[47:48], v[25:26]
	s_delay_alu instid0(VALU_DEP_2) | instskip(NEXT) | instid1(VALU_DEP_2)
	v_fma_f64 v[25:26], -v[45:46], v[49:50], v[27:28]
	v_fma_f64 v[27:28], v[43:44], v[49:50], v[30:31]
	s_cbranch_scc1 .LBB10_34
; %bb.35:                               ;   in Loop: Header=BB10_13 Depth=1
	s_mov_b32 s35, s30
	s_and_not1_b32 vcc_lo, exec_lo, s33
	s_cbranch_vccz .LBB10_37
	s_branch .LBB10_39
.LBB10_36:                              ;   in Loop: Header=BB10_13 Depth=1
	s_mov_b32 s35, 0
	s_and_not1_b32 vcc_lo, exec_lo, s33
	s_cbranch_vccnz .LBB10_39
.LBB10_37:                              ;   in Loop: Header=BB10_13 Depth=1
	s_lshl_b32 s35, s35, 4
	s_delay_alu instid0(SALU_CYCLE_1)
	v_add_nc_u32_e32 v9, s35, v36
	v_add_nc_u32_e32 v29, s35, v37
	s_mov_b32 s35, s28
	.p2align	6
.LBB10_38:                              ;   Parent Loop BB10_13 Depth=1
                                        ; =>  This Inner Loop Header: Depth=2
	ds_load_b128 v[39:42], v29
	ds_load_b128 v[43:46], v9
	v_add_nc_u32_e32 v9, 16, v9
	v_add_nc_u32_e32 v29, 16, v29
	s_add_i32 s35, s35, -1
	s_delay_alu instid0(SALU_CYCLE_1) | instskip(SKIP_3) | instid1(VALU_DEP_2)
	s_cmp_lg_u32 s35, 0
	s_waitcnt lgkmcnt(0)
	v_fma_f64 v[25:26], v[39:40], v[43:44], v[25:26]
	v_fma_f64 v[27:28], v[41:42], v[43:44], v[27:28]
	v_fma_f64 v[25:26], -v[41:42], v[45:46], v[25:26]
	s_delay_alu instid0(VALU_DEP_2)
	v_fma_f64 v[27:28], v[39:40], v[45:46], v[27:28]
	s_cbranch_scc1 .LBB10_38
.LBB10_39:                              ;   in Loop: Header=BB10_13 Depth=1
	s_or_b32 exec_lo, exec_lo, s34
	s_and_saveexec_b32 s34, s27
	s_cbranch_execz .LBB10_11
; %bb.40:                               ;   in Loop: Header=BB10_13 Depth=1
	s_and_not1_b32 vcc_lo, exec_lo, s29
	s_cbranch_vccnz .LBB10_44
; %bb.41:                               ;   in Loop: Header=BB10_13 Depth=1
	v_mov_b32_e32 v9, v37
	v_mov_b32_e32 v29, v38
	s_mov_b32 s35, 0
.LBB10_42:                              ;   Parent Loop BB10_13 Depth=1
                                        ; =>  This Inner Loop Header: Depth=2
	ds_load_b128 v[39:42], v29
	ds_load_b128 v[43:46], v9
	ds_load_b128 v[47:50], v9 offset:16
	ds_load_b128 v[51:54], v29 offset:16
	s_add_i32 s35, s35, 8
	s_delay_alu instid0(SALU_CYCLE_1) | instskip(SKIP_3) | instid1(VALU_DEP_2)
	s_cmp_lg_u32 s30, s35
	s_waitcnt lgkmcnt(2)
	v_fma_f64 v[14:15], v[43:44], v[39:40], v[14:15]
	v_fma_f64 v[12:13], v[45:46], v[39:40], v[12:13]
	v_fma_f64 v[14:15], -v[45:46], v[41:42], v[14:15]
	s_delay_alu instid0(VALU_DEP_2) | instskip(SKIP_1) | instid1(VALU_DEP_2)
	v_fma_f64 v[12:13], v[43:44], v[41:42], v[12:13]
	s_waitcnt lgkmcnt(0)
	v_fma_f64 v[14:15], v[47:48], v[51:52], v[14:15]
	s_delay_alu instid0(VALU_DEP_2) | instskip(NEXT) | instid1(VALU_DEP_2)
	v_fma_f64 v[12:13], v[49:50], v[51:52], v[12:13]
	v_fma_f64 v[30:31], -v[49:50], v[53:54], v[14:15]
	s_delay_alu instid0(VALU_DEP_2)
	v_fma_f64 v[51:52], v[47:48], v[53:54], v[12:13]
	ds_load_b128 v[12:15], v29 offset:32
	ds_load_b128 v[39:42], v9 offset:32
	;; [unrolled: 1-line block ×4, first 2 shown]
	s_waitcnt lgkmcnt(2)
	v_fma_f64 v[30:31], v[39:40], v[12:13], v[30:31]
	v_fma_f64 v[12:13], v[41:42], v[12:13], v[51:52]
	s_delay_alu instid0(VALU_DEP_2) | instskip(NEXT) | instid1(VALU_DEP_2)
	v_fma_f64 v[30:31], -v[41:42], v[14:15], v[30:31]
	v_fma_f64 v[12:13], v[39:40], v[14:15], v[12:13]
	s_waitcnt lgkmcnt(0)
	s_delay_alu instid0(VALU_DEP_2) | instskip(NEXT) | instid1(VALU_DEP_2)
	v_fma_f64 v[14:15], v[43:44], v[47:48], v[30:31]
	v_fma_f64 v[12:13], v[45:46], v[47:48], v[12:13]
	s_delay_alu instid0(VALU_DEP_2) | instskip(NEXT) | instid1(VALU_DEP_2)
	v_fma_f64 v[30:31], -v[45:46], v[49:50], v[14:15]
	v_fma_f64 v[51:52], v[43:44], v[49:50], v[12:13]
	ds_load_b128 v[12:15], v29 offset:64
	ds_load_b128 v[39:42], v9 offset:64
	;; [unrolled: 1-line block ×4, first 2 shown]
	s_waitcnt lgkmcnt(2)
	v_fma_f64 v[30:31], v[39:40], v[12:13], v[30:31]
	v_fma_f64 v[12:13], v[41:42], v[12:13], v[51:52]
	s_delay_alu instid0(VALU_DEP_2) | instskip(NEXT) | instid1(VALU_DEP_2)
	v_fma_f64 v[30:31], -v[41:42], v[14:15], v[30:31]
	v_fma_f64 v[12:13], v[39:40], v[14:15], v[12:13]
	s_waitcnt lgkmcnt(0)
	s_delay_alu instid0(VALU_DEP_2) | instskip(NEXT) | instid1(VALU_DEP_2)
	v_fma_f64 v[14:15], v[43:44], v[47:48], v[30:31]
	v_fma_f64 v[12:13], v[45:46], v[47:48], v[12:13]
	s_delay_alu instid0(VALU_DEP_2) | instskip(NEXT) | instid1(VALU_DEP_2)
	v_fma_f64 v[30:31], -v[45:46], v[49:50], v[14:15]
	v_fma_f64 v[51:52], v[43:44], v[49:50], v[12:13]
	ds_load_b128 v[12:15], v29 offset:96
	ds_load_b128 v[39:42], v9 offset:96
	;; [unrolled: 1-line block ×4, first 2 shown]
	v_add_nc_u32_e32 v29, 0x80, v29
	v_add_nc_u32_e32 v9, 0x80, v9
	s_waitcnt lgkmcnt(2)
	v_fma_f64 v[30:31], v[39:40], v[12:13], v[30:31]
	v_fma_f64 v[12:13], v[41:42], v[12:13], v[51:52]
	s_delay_alu instid0(VALU_DEP_2) | instskip(NEXT) | instid1(VALU_DEP_2)
	v_fma_f64 v[30:31], -v[41:42], v[14:15], v[30:31]
	v_fma_f64 v[12:13], v[39:40], v[14:15], v[12:13]
	s_waitcnt lgkmcnt(0)
	s_delay_alu instid0(VALU_DEP_2) | instskip(NEXT) | instid1(VALU_DEP_2)
	v_fma_f64 v[14:15], v[43:44], v[47:48], v[30:31]
	v_fma_f64 v[12:13], v[45:46], v[47:48], v[12:13]
	s_delay_alu instid0(VALU_DEP_2) | instskip(NEXT) | instid1(VALU_DEP_2)
	v_fma_f64 v[14:15], -v[45:46], v[49:50], v[14:15]
	v_fma_f64 v[12:13], v[43:44], v[49:50], v[12:13]
	s_cbranch_scc1 .LBB10_42
; %bb.43:                               ;   in Loop: Header=BB10_13 Depth=1
	s_mov_b32 s35, s30
	s_and_not1_b32 vcc_lo, exec_lo, s33
	s_cbranch_vccz .LBB10_45
	s_branch .LBB10_11
.LBB10_44:                              ;   in Loop: Header=BB10_13 Depth=1
	s_mov_b32 s35, 0
	s_and_not1_b32 vcc_lo, exec_lo, s33
	s_cbranch_vccnz .LBB10_11
.LBB10_45:                              ;   in Loop: Header=BB10_13 Depth=1
	s_lshl_b32 s35, s35, 4
	s_delay_alu instid0(SALU_CYCLE_1)
	v_add_nc_u32_e32 v9, s35, v38
	v_add_nc_u32_e32 v29, s35, v37
	s_mov_b32 s35, s28
	.p2align	6
.LBB10_46:                              ;   Parent Loop BB10_13 Depth=1
                                        ; =>  This Inner Loop Header: Depth=2
	ds_load_b128 v[39:42], v29
	ds_load_b128 v[43:46], v9
	v_add_nc_u32_e32 v9, 16, v9
	v_add_nc_u32_e32 v29, 16, v29
	s_add_i32 s35, s35, -1
	s_delay_alu instid0(SALU_CYCLE_1) | instskip(SKIP_3) | instid1(VALU_DEP_2)
	s_cmp_lg_u32 s35, 0
	s_waitcnt lgkmcnt(0)
	v_fma_f64 v[14:15], v[39:40], v[43:44], v[14:15]
	v_fma_f64 v[12:13], v[41:42], v[43:44], v[12:13]
	v_fma_f64 v[14:15], -v[41:42], v[45:46], v[14:15]
	s_delay_alu instid0(VALU_DEP_2)
	v_fma_f64 v[12:13], v[39:40], v[45:46], v[12:13]
	s_cbranch_scc1 .LBB10_46
	s_branch .LBB10_11
.LBB10_47:
	s_delay_alu instid0(VALU_DEP_1) | instskip(NEXT) | instid1(SALU_CYCLE_1)
	s_and_b32 s4, s13, s4
	s_and_b32 exec_lo, exec_lo, s4
	s_cbranch_execz .LBB10_58
; %bb.48:
	s_waitcnt vmcnt(0)
	v_cmp_neq_f64_e32 vcc_lo, 0, v[4:5]
	v_cmp_neq_f64_e64 s4, 0, v[6:7]
	v_mad_u64_u32 v[16:17], null, s14, s10, v[10:11]
	s_load_b64 s[8:9], s[2:3], 0x68
	s_delay_alu instid0(VALU_DEP_1) | instskip(NEXT) | instid1(VALU_DEP_1)
	v_ashrrev_i32_e32 v17, 31, v16
	v_lshlrev_b64 v[9:10], 4, v[16:17]
	s_delay_alu instid0(VALU_DEP_1) | instskip(NEXT) | instid1(VALU_DEP_1)
	v_add_co_u32 v9, s2, s6, v9
	v_add_co_ci_u32_e64 v10, s2, s7, v10, s2
	s_or_b32 s2, vcc_lo, s4
	s_and_saveexec_b32 s3, s1
	s_cbranch_execz .LBB10_53
; %bb.49:
	s_and_saveexec_b32 s1, s2
	s_delay_alu instid0(SALU_CYCLE_1)
	s_xor_b32 s1, exec_lo, s1
	s_cbranch_execz .LBB10_51
; %bb.50:
	v_ashrrev_i32_e32 v18, 31, v11
	s_waitcnt lgkmcnt(0)
	v_mul_lo_u32 v19, v11, s9
	v_mad_u64_u32 v[16:17], null, v11, s8, 0
	v_mul_f64 v[22:23], v[27:28], -v[2:3]
	v_mul_lo_u32 v11, v18, s8
	v_mul_f64 v[27:28], v[0:1], v[27:28]
	s_delay_alu instid0(VALU_DEP_2) | instskip(NEXT) | instid1(VALU_DEP_1)
	v_add3_u32 v17, v17, v19, v11
                                        ; implicit-def: $vgpr11
	v_lshlrev_b64 v[16:17], 4, v[16:17]
	s_delay_alu instid0(VALU_DEP_1) | instskip(NEXT) | instid1(VALU_DEP_2)
	v_add_co_u32 v20, vcc_lo, v9, v16
	v_add_co_ci_u32_e32 v21, vcc_lo, v10, v17, vcc_lo
	global_load_b128 v[16:19], v[20:21], off
	v_fma_f64 v[22:23], v[0:1], v[25:26], v[22:23]
	v_fma_f64 v[24:25], v[2:3], v[25:26], v[27:28]
                                        ; implicit-def: $vgpr27_vgpr28
	s_waitcnt vmcnt(0)
	s_delay_alu instid0(VALU_DEP_2) | instskip(NEXT) | instid1(VALU_DEP_2)
	v_fma_f64 v[22:23], v[4:5], v[16:17], v[22:23]
	v_fma_f64 v[24:25], v[6:7], v[16:17], v[24:25]
	s_delay_alu instid0(VALU_DEP_2) | instskip(NEXT) | instid1(VALU_DEP_2)
	v_fma_f64 v[16:17], -v[6:7], v[18:19], v[22:23]
	v_fma_f64 v[18:19], v[4:5], v[18:19], v[24:25]
                                        ; implicit-def: $vgpr25_vgpr26
	global_store_b128 v[20:21], v[16:19], off
.LBB10_51:
	s_and_not1_saveexec_b32 s1, s1
	s_cbranch_execz .LBB10_53
; %bb.52:
	v_mul_f64 v[16:17], v[27:28], -v[2:3]
	v_mul_f64 v[18:19], v[0:1], v[27:28]
	v_ashrrev_i32_e32 v20, 31, v11
	s_waitcnt lgkmcnt(0)
	v_mul_lo_u32 v22, v11, s9
	s_delay_alu instid0(VALU_DEP_2) | instskip(SKIP_1) | instid1(VALU_DEP_1)
	v_mul_lo_u32 v23, v20, s8
	v_mad_u64_u32 v[20:21], null, v11, s8, 0
	v_add3_u32 v21, v21, v22, v23
	s_delay_alu instid0(VALU_DEP_1) | instskip(NEXT) | instid1(VALU_DEP_1)
	v_lshlrev_b64 v[20:21], 4, v[20:21]
	v_add_co_u32 v20, vcc_lo, v9, v20
	s_delay_alu instid0(VALU_DEP_2)
	v_add_co_ci_u32_e32 v21, vcc_lo, v10, v21, vcc_lo
	v_fma_f64 v[16:17], v[0:1], v[25:26], v[16:17]
	v_fma_f64 v[18:19], v[2:3], v[25:26], v[18:19]
	global_store_b128 v[20:21], v[16:19], off
.LBB10_53:
	s_or_b32 exec_lo, exec_lo, s3
	s_delay_alu instid0(SALU_CYCLE_1)
	s_and_b32 exec_lo, exec_lo, s0
	s_cbranch_execz .LBB10_58
; %bb.54:
	s_and_saveexec_b32 s0, s2
	s_delay_alu instid0(SALU_CYCLE_1)
	s_xor_b32 s0, exec_lo, s0
	s_cbranch_execz .LBB10_56
; %bb.55:
	v_ashrrev_i32_e32 v11, 31, v8
	s_waitcnt lgkmcnt(0)
	v_mul_lo_u32 v18, v8, s9
	v_mad_u64_u32 v[16:17], null, v8, s8, 0
	s_delay_alu instid0(VALU_DEP_3) | instskip(NEXT) | instid1(VALU_DEP_1)
	v_mul_lo_u32 v8, v11, s8
	v_add3_u32 v17, v17, v18, v8
	v_mul_f64 v[18:19], v[12:13], -v[2:3]
	v_mul_f64 v[12:13], v[0:1], v[12:13]
	s_delay_alu instid0(VALU_DEP_3) | instskip(NEXT) | instid1(VALU_DEP_1)
	v_lshlrev_b64 v[16:17], 4, v[16:17]
	v_add_co_u32 v16, vcc_lo, v9, v16
	s_delay_alu instid0(VALU_DEP_2) | instskip(SKIP_4) | instid1(VALU_DEP_2)
	v_add_co_ci_u32_e32 v17, vcc_lo, v10, v17, vcc_lo
	global_load_b128 v[8:11], v[16:17], off
	v_fma_f64 v[0:1], v[0:1], v[14:15], v[18:19]
	v_fma_f64 v[2:3], v[2:3], v[14:15], v[12:13]
                                        ; implicit-def: $vgpr12_vgpr13
                                        ; implicit-def: $vgpr14_vgpr15
	s_waitcnt vmcnt(0)
	v_fma_f64 v[0:1], v[4:5], v[8:9], v[0:1]
	s_delay_alu instid0(VALU_DEP_2) | instskip(NEXT) | instid1(VALU_DEP_2)
	v_fma_f64 v[2:3], v[6:7], v[8:9], v[2:3]
                                        ; implicit-def: $vgpr8
                                        ; implicit-def: $vgpr9
	v_fma_f64 v[0:1], -v[6:7], v[10:11], v[0:1]
	s_delay_alu instid0(VALU_DEP_2)
	v_fma_f64 v[2:3], v[4:5], v[10:11], v[2:3]
                                        ; implicit-def: $vgpr10
	global_store_b128 v[16:17], v[0:3], off
                                        ; implicit-def: $vgpr2_vgpr3
                                        ; implicit-def: $vgpr0_vgpr1
.LBB10_56:
	s_and_not1_saveexec_b32 s0, s0
	s_cbranch_execz .LBB10_58
; %bb.57:
	v_mul_f64 v[4:5], v[12:13], -v[2:3]
	v_mul_f64 v[6:7], v[0:1], v[12:13]
	s_delay_alu instid0(VALU_DEP_2) | instskip(NEXT) | instid1(VALU_DEP_2)
	v_fma_f64 v[0:1], v[0:1], v[14:15], v[4:5]
	v_fma_f64 v[2:3], v[2:3], v[14:15], v[6:7]
	v_ashrrev_i32_e32 v4, 31, v8
	s_waitcnt lgkmcnt(0)
	v_mul_lo_u32 v6, v8, s9
	s_delay_alu instid0(VALU_DEP_2) | instskip(SKIP_1) | instid1(VALU_DEP_1)
	v_mul_lo_u32 v7, v4, s8
	v_mad_u64_u32 v[4:5], null, v8, s8, 0
	v_add3_u32 v5, v5, v6, v7
	s_delay_alu instid0(VALU_DEP_1) | instskip(NEXT) | instid1(VALU_DEP_1)
	v_lshlrev_b64 v[4:5], 4, v[4:5]
	v_add_co_u32 v4, vcc_lo, v9, v4
	s_delay_alu instid0(VALU_DEP_2)
	v_add_co_ci_u32_e32 v5, vcc_lo, v10, v5, vcc_lo
	global_store_b128 v[4:5], v[0:3], off
.LBB10_58:
	s_nop 0
	s_sendmsg sendmsg(MSG_DEALLOC_VGPRS)
	s_endpgm
	.section	.rodata,"a",@progbits
	.p2align	6, 0x0
	.amdhsa_kernel _ZN9rocsparseL33gebsrmm_large_blockdim_kernel_extILi16ELi16ELi2E21rocsparse_complex_numIdEEEv20rocsparse_direction_20rocsparse_operation_iiNS_24const_host_device_scalarIT2_EEPKiS9_PKS6_iiSB_lS7_PS6_l21rocsparse_index_base_b
		.amdhsa_group_segment_fixed_size 16384
		.amdhsa_private_segment_fixed_size 0
		.amdhsa_kernarg_size 120
		.amdhsa_user_sgpr_count 14
		.amdhsa_user_sgpr_dispatch_ptr 1
		.amdhsa_user_sgpr_queue_ptr 0
		.amdhsa_user_sgpr_kernarg_segment_ptr 1
		.amdhsa_user_sgpr_dispatch_id 0
		.amdhsa_user_sgpr_private_segment_size 0
		.amdhsa_wavefront_size32 1
		.amdhsa_uses_dynamic_stack 0
		.amdhsa_enable_private_segment 0
		.amdhsa_system_sgpr_workgroup_id_x 1
		.amdhsa_system_sgpr_workgroup_id_y 1
		.amdhsa_system_sgpr_workgroup_id_z 0
		.amdhsa_system_sgpr_workgroup_info 0
		.amdhsa_system_vgpr_workitem_id 2
		.amdhsa_next_free_vgpr 55
		.amdhsa_next_free_sgpr 38
		.amdhsa_reserve_vcc 1
		.amdhsa_float_round_mode_32 0
		.amdhsa_float_round_mode_16_64 0
		.amdhsa_float_denorm_mode_32 3
		.amdhsa_float_denorm_mode_16_64 3
		.amdhsa_dx10_clamp 1
		.amdhsa_ieee_mode 1
		.amdhsa_fp16_overflow 0
		.amdhsa_workgroup_processor_mode 1
		.amdhsa_memory_ordered 1
		.amdhsa_forward_progress 0
		.amdhsa_shared_vgpr_count 0
		.amdhsa_exception_fp_ieee_invalid_op 0
		.amdhsa_exception_fp_denorm_src 0
		.amdhsa_exception_fp_ieee_div_zero 0
		.amdhsa_exception_fp_ieee_overflow 0
		.amdhsa_exception_fp_ieee_underflow 0
		.amdhsa_exception_fp_ieee_inexact 0
		.amdhsa_exception_int_div_zero 0
	.end_amdhsa_kernel
	.section	.text._ZN9rocsparseL33gebsrmm_large_blockdim_kernel_extILi16ELi16ELi2E21rocsparse_complex_numIdEEEv20rocsparse_direction_20rocsparse_operation_iiNS_24const_host_device_scalarIT2_EEPKiS9_PKS6_iiSB_lS7_PS6_l21rocsparse_index_base_b,"axG",@progbits,_ZN9rocsparseL33gebsrmm_large_blockdim_kernel_extILi16ELi16ELi2E21rocsparse_complex_numIdEEEv20rocsparse_direction_20rocsparse_operation_iiNS_24const_host_device_scalarIT2_EEPKiS9_PKS6_iiSB_lS7_PS6_l21rocsparse_index_base_b,comdat
.Lfunc_end10:
	.size	_ZN9rocsparseL33gebsrmm_large_blockdim_kernel_extILi16ELi16ELi2E21rocsparse_complex_numIdEEEv20rocsparse_direction_20rocsparse_operation_iiNS_24const_host_device_scalarIT2_EEPKiS9_PKS6_iiSB_lS7_PS6_l21rocsparse_index_base_b, .Lfunc_end10-_ZN9rocsparseL33gebsrmm_large_blockdim_kernel_extILi16ELi16ELi2E21rocsparse_complex_numIdEEEv20rocsparse_direction_20rocsparse_operation_iiNS_24const_host_device_scalarIT2_EEPKiS9_PKS6_iiSB_lS7_PS6_l21rocsparse_index_base_b
                                        ; -- End function
	.section	.AMDGPU.csdata,"",@progbits
; Kernel info:
; codeLenInByte = 3464
; NumSgprs: 40
; NumVgprs: 55
; ScratchSize: 0
; MemoryBound: 0
; FloatMode: 240
; IeeeMode: 1
; LDSByteSize: 16384 bytes/workgroup (compile time only)
; SGPRBlocks: 4
; VGPRBlocks: 6
; NumSGPRsForWavesPerEU: 40
; NumVGPRsForWavesPerEU: 55
; Occupancy: 16
; WaveLimiterHint : 0
; COMPUTE_PGM_RSRC2:SCRATCH_EN: 0
; COMPUTE_PGM_RSRC2:USER_SGPR: 14
; COMPUTE_PGM_RSRC2:TRAP_HANDLER: 0
; COMPUTE_PGM_RSRC2:TGID_X_EN: 1
; COMPUTE_PGM_RSRC2:TGID_Y_EN: 1
; COMPUTE_PGM_RSRC2:TGID_Z_EN: 0
; COMPUTE_PGM_RSRC2:TIDIG_COMP_CNT: 2
	.section	.text._ZN9rocsparseL33gebsrmm_large_blockdim_kernel_extILi32ELi32ELi2E21rocsparse_complex_numIdEEEv20rocsparse_direction_20rocsparse_operation_iiNS_24const_host_device_scalarIT2_EEPKiS9_PKS6_iiSB_lS7_PS6_l21rocsparse_index_base_b,"axG",@progbits,_ZN9rocsparseL33gebsrmm_large_blockdim_kernel_extILi32ELi32ELi2E21rocsparse_complex_numIdEEEv20rocsparse_direction_20rocsparse_operation_iiNS_24const_host_device_scalarIT2_EEPKiS9_PKS6_iiSB_lS7_PS6_l21rocsparse_index_base_b,comdat
	.globl	_ZN9rocsparseL33gebsrmm_large_blockdim_kernel_extILi32ELi32ELi2E21rocsparse_complex_numIdEEEv20rocsparse_direction_20rocsparse_operation_iiNS_24const_host_device_scalarIT2_EEPKiS9_PKS6_iiSB_lS7_PS6_l21rocsparse_index_base_b ; -- Begin function _ZN9rocsparseL33gebsrmm_large_blockdim_kernel_extILi32ELi32ELi2E21rocsparse_complex_numIdEEEv20rocsparse_direction_20rocsparse_operation_iiNS_24const_host_device_scalarIT2_EEPKiS9_PKS6_iiSB_lS7_PS6_l21rocsparse_index_base_b
	.p2align	8
	.type	_ZN9rocsparseL33gebsrmm_large_blockdim_kernel_extILi32ELi32ELi2E21rocsparse_complex_numIdEEEv20rocsparse_direction_20rocsparse_operation_iiNS_24const_host_device_scalarIT2_EEPKiS9_PKS6_iiSB_lS7_PS6_l21rocsparse_index_base_b,@function
_ZN9rocsparseL33gebsrmm_large_blockdim_kernel_extILi32ELi32ELi2E21rocsparse_complex_numIdEEEv20rocsparse_direction_20rocsparse_operation_iiNS_24const_host_device_scalarIT2_EEPKiS9_PKS6_iiSB_lS7_PS6_l21rocsparse_index_base_b: ; @_ZN9rocsparseL33gebsrmm_large_blockdim_kernel_extILi32ELi32ELi2E21rocsparse_complex_numIdEEEv20rocsparse_direction_20rocsparse_operation_iiNS_24const_host_device_scalarIT2_EEPKiS9_PKS6_iiSB_lS7_PS6_l21rocsparse_index_base_b
; %bb.0:
	s_clause 0x1
	s_load_b64 s[12:13], s[2:3], 0x70
	s_load_b128 s[4:7], s[2:3], 0x10
	s_load_b64 s[16:17], s[0:1], 0x4
	s_mov_b64 s[0:1], src_shared_base
	v_and_b32_e32 v10, 0x3ff, v0
	s_load_b128 s[8:11], s[2:3], 0x48
	v_bfe_u32 v16, v0, 10, 10
	v_bfe_u32 v0, v0, 20, 10
	s_waitcnt lgkmcnt(0)
	s_bitcmp1_b32 s13, 0
	s_cselect_b32 s0, -1, 0
	s_delay_alu instid0(SALU_CYCLE_1) | instskip(SKIP_4) | instid1(SALU_CYCLE_1)
	s_and_b32 vcc_lo, s0, exec_lo
	s_cselect_b32 s13, s1, s5
	s_lshr_b32 s16, s16, 16
	v_mov_b32_e32 v5, s13
	s_mul_i32 s16, s16, s17
	v_mul_lo_u32 v1, s16, v10
	s_delay_alu instid0(VALU_DEP_1) | instskip(SKIP_2) | instid1(VALU_DEP_2)
	v_mad_u32_u24 v1, v16, s17, v1
	s_load_b64 s[16:17], s[2:3], 0x58
	v_dual_mov_b32 v2, s10 :: v_dual_mov_b32 v3, s11
	v_add_lshl_u32 v6, v1, v0, 3
	v_dual_mov_b32 v0, s4 :: v_dual_mov_b32 v1, s5
	s_delay_alu instid0(VALU_DEP_2)
	v_add_nc_u32_e32 v4, 0xe000, v6
	ds_store_2addr_stride64_b64 v6, v[2:3], v[0:1] offset0:96 offset1:112
	v_dual_mov_b32 v2, s6 :: v_dual_mov_b32 v3, s7
	v_cndmask_b32_e64 v4, s4, v4, s0
	s_xor_b32 s6, s0, -1
	flat_load_b64 v[0:1], v[4:5]
	v_add_nc_u32_e32 v4, 0xc000, v6
	s_cbranch_vccnz .LBB11_2
; %bb.1:
	v_dual_mov_b32 v2, s4 :: v_dual_mov_b32 v3, s5
	flat_load_b64 v[2:3], v[2:3] offset:8
.LBB11_2:
	s_and_b32 s4, s0, exec_lo
	s_cselect_b32 s1, s1, s11
	s_delay_alu instid0(VALU_DEP_1)
	v_cndmask_b32_e64 v4, s10, v4, s0
	s_waitcnt lgkmcnt(0)
	v_dual_mov_b32 v5, s1 :: v_dual_mov_b32 v6, s16
	v_mov_b32_e32 v7, s17
	s_and_not1_b32 vcc_lo, exec_lo, s6
	flat_load_b64 v[4:5], v[4:5]
	s_cbranch_vccnz .LBB11_4
; %bb.3:
	v_dual_mov_b32 v6, s10 :: v_dual_mov_b32 v7, s11
	flat_load_b64 v[6:7], v[6:7] offset:8
.LBB11_4:
	s_waitcnt vmcnt(1)
	v_cmp_eq_f64_e32 vcc_lo, 0, v[0:1]
	v_cmp_eq_f64_e64 s0, 0, v[2:3]
	s_delay_alu instid0(VALU_DEP_1)
	s_and_b32 s4, vcc_lo, s0
	s_mov_b32 s0, -1
	s_and_saveexec_b32 s1, s4
	s_cbranch_execz .LBB11_6
; %bb.5:
	s_waitcnt vmcnt(0) lgkmcnt(0)
	v_cmp_neq_f64_e32 vcc_lo, 1.0, v[4:5]
	v_cmp_neq_f64_e64 s0, 0, v[6:7]
	s_delay_alu instid0(VALU_DEP_1) | instskip(NEXT) | instid1(SALU_CYCLE_1)
	s_or_b32 s0, vcc_lo, s0
	s_or_not1_b32 s0, s0, exec_lo
.LBB11_6:
	s_or_b32 exec_lo, exec_lo, s1
	s_and_saveexec_b32 s1, s0
	s_cbranch_execz .LBB11_58
; %bb.7:
	s_load_b128 s[20:23], s[2:3], 0x0
	s_mov_b32 s26, 0
	s_waitcnt lgkmcnt(0)
	s_cmp_lt_i32 s14, s22
	s_cselect_b32 s13, -1, 0
	s_cmp_ge_i32 s14, s22
	s_mov_b32 s22, 0
	s_cbranch_scc1 .LBB11_9
; %bb.8:
	s_load_b64 s[4:5], s[2:3], 0x20
	s_mov_b32 s0, s15
	s_ashr_i32 s15, s14, 31
	s_delay_alu instid0(SALU_CYCLE_1)
	s_lshl_b64 s[6:7], s[14:15], 2
	s_mov_b32 s15, s0
	s_waitcnt lgkmcnt(0)
	s_add_u32 s0, s4, s6
	s_addc_u32 s1, s5, s7
	s_load_b64 s[0:1], s[0:1], 0x0
	s_waitcnt lgkmcnt(0)
	s_sub_i32 s22, s0, s12
	s_sub_i32 s26, s1, s12
.LBB11_9:
	s_clause 0x1
	s_load_b64 s[10:11], s[2:3], 0x38
	s_load_b64 s[6:7], s[2:3], 0x60
	v_lshl_add_u32 v11, s15, 6, v16
	v_mov_b32_e32 v12, 0
	v_mov_b32_e32 v13, 0
	s_cmp_ge_i32 s22, s26
	s_delay_alu instid0(VALU_DEP_3) | instskip(SKIP_1) | instid1(VALU_DEP_3)
	v_add_nc_u32_e32 v8, 32, v11
	v_cmp_gt_i32_e64 s1, s23, v11
	v_dual_mov_b32 v15, v13 :: v_dual_mov_b32 v14, v12
	v_dual_mov_b32 v28, v13 :: v_dual_mov_b32 v27, v12
	s_delay_alu instid0(VALU_DEP_4)
	v_cmp_gt_i32_e64 s0, s23, v8
	v_dual_mov_b32 v26, v13 :: v_dual_mov_b32 v25, v12
	s_waitcnt lgkmcnt(0)
	v_cmp_gt_i32_e64 s4, s10, v10
	s_cbranch_scc1 .LBB11_47
; %bb.10:
	v_cmp_gt_i32_e32 vcc_lo, s11, v16
	v_mad_u64_u32 v[13:14], null, v16, s10, v[10:11]
	v_ashrrev_i32_e32 v9, 31, v8
	v_ashrrev_i32_e32 v12, 31, v11
	s_and_b32 s15, s4, vcc_lo
	s_cmpk_lg_i32 s21, 0x6f
	s_clause 0x1
	s_load_b128 s[16:19], s[2:3], 0x28
	s_load_b64 s[24:25], s[2:3], 0x40
	s_cselect_b32 s21, -1, 0
	s_cmp_eq_u32 s20, 0
	v_mul_lo_u32 v20, v8, s9
	s_cselect_b32 vcc_lo, -1, 0
	v_lshlrev_b32_e32 v17, 5, v16
	v_mul_lo_u32 v25, v9, s8
	v_mad_u64_u32 v[23:24], null, v8, s8, 0
	v_mul_lo_u32 v19, v12, s8
	s_delay_alu instid0(VALU_DEP_4)
	v_mad_u64_u32 v[14:15], null, v10, s11, v[16:17]
	v_mul_lo_u32 v15, v11, s9
	v_mad_u64_u32 v[21:22], null, v11, s8, 0
	v_lshl_add_u32 v18, v10, 5, v16
	v_lshlrev_b32_e32 v36, 9, v16
	s_cmp_gt_i32 s11, 0
	v_cndmask_b32_e32 v16, v13, v14, vcc_lo
	v_add_lshl_u32 v33, v17, v10, 4
	v_add3_u32 v24, v24, v20, v25
	v_mov_b32_e32 v25, 0
	v_add3_u32 v22, v22, v15, v19
	s_delay_alu instid0(VALU_DEP_4)
	v_dual_mov_b32 v26, 0 :: v_dual_add_nc_u32 v35, 0x4000, v33
	s_cselect_b32 s23, -1, 0
	s_and_b32 s28, s11, 7
	s_and_b32 s20, s1, s23
	;; [unrolled: 1-line block ×3, first 2 shown]
	s_cmp_gt_u32 s11, 7
	v_lshl_add_u32 v34, v18, 4, 0x8000
	v_lshlrev_b64 v[17:18], 4, v[11:12]
	v_lshlrev_b64 v[19:20], 4, v[8:9]
	;; [unrolled: 1-line block ×4, first 2 shown]
	v_mov_b32_e32 v28, v26
	v_cmp_gt_i32_e64 s5, s11, v10
	s_cselect_b32 s29, -1, 0
	s_and_b32 s30, s11, 0x7ffffff8
	v_lshl_add_u32 v37, v10, 9, 0x8000
	v_dual_mov_b32 v27, v25 :: v_dual_add_nc_u32 v38, 0x4000, v36
	v_dual_mov_b32 v14, v25 :: v_dual_mov_b32 v15, v26
	v_dual_mov_b32 v12, v25 :: v_dual_mov_b32 v13, v26
	s_cmp_lg_u32 s28, 0
	s_mul_i32 s31, s11, s10
	s_cselect_b32 s33, -1, 0
	s_branch .LBB11_13
.LBB11_11:                              ;   in Loop: Header=BB11_13 Depth=1
	s_or_b32 exec_lo, exec_lo, s34
.LBB11_12:                              ;   in Loop: Header=BB11_13 Depth=1
	s_delay_alu instid0(SALU_CYCLE_1) | instskip(SKIP_1) | instid1(SALU_CYCLE_1)
	s_or_b32 exec_lo, exec_lo, s23
	s_add_i32 s22, s22, 1
	s_cmp_ge_i32 s22, s26
	s_barrier
	buffer_gl0_inv
	s_cbranch_scc1 .LBB11_47
.LBB11_13:                              ; =>This Loop Header: Depth=1
                                        ;     Child Loop BB11_34 Depth 2
                                        ;     Child Loop BB11_38 Depth 2
	;; [unrolled: 1-line block ×4, first 2 shown]
	s_and_saveexec_b32 s34, s5
	s_cbranch_execz .LBB11_28
; %bb.14:                               ;   in Loop: Header=BB11_13 Depth=1
	s_ashr_i32 s23, s22, 31
	s_delay_alu instid0(SALU_CYCLE_1)
	s_lshl_b64 s[36:37], s[22:23], 2
	s_waitcnt lgkmcnt(0)
	s_add_u32 s36, s16, s36
	s_addc_u32 s37, s17, s37
	s_and_not1_b32 vcc_lo, exec_lo, s21
	s_load_b32 s23, s[36:37], 0x0
	s_waitcnt lgkmcnt(0)
	s_sub_i32 s23, s23, s12
	s_delay_alu instid0(SALU_CYCLE_1) | instskip(NEXT) | instid1(VALU_DEP_1)
	v_mad_u64_u32 v[29:30], null, s23, s11, v[10:11]
	v_ashrrev_i32_e32 v30, 31, v29
	s_cbranch_vccnz .LBB11_20
; %bb.15:                               ;   in Loop: Header=BB11_13 Depth=1
	s_delay_alu instid0(VALU_DEP_1) | instskip(SKIP_2) | instid1(VALU_DEP_1)
	v_mul_lo_u32 v9, v30, s8
	v_mul_lo_u32 v39, v29, s9
	v_mad_u64_u32 v[31:32], null, v29, s8, 0
	v_add3_u32 v32, v32, v39, v9
	s_delay_alu instid0(VALU_DEP_1) | instskip(NEXT) | instid1(VALU_DEP_1)
	v_lshlrev_b64 v[31:32], 4, v[31:32]
	v_add_co_u32 v9, vcc_lo, s24, v31
	s_delay_alu instid0(VALU_DEP_2)
	v_add_co_ci_u32_e32 v39, vcc_lo, s25, v32, vcc_lo
	s_and_saveexec_b32 s23, s1
	s_cbranch_execz .LBB11_17
; %bb.16:                               ;   in Loop: Header=BB11_13 Depth=1
	s_delay_alu instid0(VALU_DEP_2) | instskip(NEXT) | instid1(VALU_DEP_2)
	v_add_co_u32 v31, vcc_lo, v9, v17
	v_add_co_ci_u32_e32 v32, vcc_lo, v39, v18, vcc_lo
	global_load_b128 v[40:43], v[31:32], off
	s_waitcnt vmcnt(0)
	ds_store_2addr_b64 v33, v[40:41], v[42:43] offset1:1
.LBB11_17:                              ;   in Loop: Header=BB11_13 Depth=1
	s_or_b32 exec_lo, exec_lo, s23
	s_mov_b32 s35, 0
	s_mov_b32 s23, 0
                                        ; implicit-def: $vgpr31_vgpr32
	s_and_saveexec_b32 s36, s0
	s_delay_alu instid0(SALU_CYCLE_1)
	s_xor_b32 s36, exec_lo, s36
; %bb.18:                               ;   in Loop: Header=BB11_13 Depth=1
	v_add_co_u32 v31, vcc_lo, v9, v19
	v_add_co_ci_u32_e32 v32, vcc_lo, v39, v20, vcc_lo
	s_mov_b32 s23, exec_lo
; %bb.19:                               ;   in Loop: Header=BB11_13 Depth=1
	s_or_b32 exec_lo, exec_lo, s36
	s_delay_alu instid0(SALU_CYCLE_1)
	s_and_b32 vcc_lo, exec_lo, s35
	s_cbranch_vccnz .LBB11_21
	s_branch .LBB11_26
.LBB11_20:                              ;   in Loop: Header=BB11_13 Depth=1
	s_mov_b32 s23, 0
                                        ; implicit-def: $vgpr31_vgpr32
	s_cbranch_execz .LBB11_26
.LBB11_21:                              ;   in Loop: Header=BB11_13 Depth=1
	s_delay_alu instid0(VALU_DEP_1) | instskip(NEXT) | instid1(VALU_DEP_1)
	v_lshlrev_b64 v[29:30], 4, v[29:30]
	v_add_co_u32 v9, vcc_lo, s24, v29
	s_delay_alu instid0(VALU_DEP_2)
	v_add_co_ci_u32_e32 v29, vcc_lo, s25, v30, vcc_lo
	s_and_saveexec_b32 s35, s1
	s_cbranch_execz .LBB11_23
; %bb.22:                               ;   in Loop: Header=BB11_13 Depth=1
	s_delay_alu instid0(VALU_DEP_2) | instskip(NEXT) | instid1(VALU_DEP_2)
	v_add_co_u32 v30, vcc_lo, v9, v21
	v_add_co_ci_u32_e32 v31, vcc_lo, v29, v22, vcc_lo
	global_load_b128 v[39:42], v[30:31], off
	s_waitcnt vmcnt(0)
	ds_store_2addr_b64 v33, v[39:40], v[41:42] offset1:1
.LBB11_23:                              ;   in Loop: Header=BB11_13 Depth=1
	s_or_b32 exec_lo, exec_lo, s35
                                        ; implicit-def: $vgpr31_vgpr32
	s_and_saveexec_b32 s35, s0
; %bb.24:                               ;   in Loop: Header=BB11_13 Depth=1
	v_add_co_u32 v31, vcc_lo, v9, v23
	v_add_co_ci_u32_e32 v32, vcc_lo, v29, v24, vcc_lo
	s_or_b32 s23, s23, exec_lo
; %bb.25:                               ;   in Loop: Header=BB11_13 Depth=1
	s_or_b32 exec_lo, exec_lo, s35
.LBB11_26:                              ;   in Loop: Header=BB11_13 Depth=1
	s_delay_alu instid0(SALU_CYCLE_1)
	s_and_b32 exec_lo, exec_lo, s23
	s_cbranch_execz .LBB11_28
; %bb.27:                               ;   in Loop: Header=BB11_13 Depth=1
	global_load_b128 v[29:32], v[31:32], off
	s_waitcnt vmcnt(0)
	ds_store_2addr_b64 v35, v[29:30], v[31:32] offset1:1
.LBB11_28:                              ;   in Loop: Header=BB11_13 Depth=1
	s_or_b32 exec_lo, exec_lo, s34
	s_and_saveexec_b32 s23, s15
	s_cbranch_execz .LBB11_30
; %bb.29:                               ;   in Loop: Header=BB11_13 Depth=1
	v_mad_u64_u32 v[29:30], null, s31, s22, v[16:17]
	s_delay_alu instid0(VALU_DEP_1) | instskip(NEXT) | instid1(VALU_DEP_1)
	v_ashrrev_i32_e32 v30, 31, v29
	v_lshlrev_b64 v[29:30], 4, v[29:30]
	s_waitcnt lgkmcnt(0)
	s_delay_alu instid0(VALU_DEP_1) | instskip(NEXT) | instid1(VALU_DEP_2)
	v_add_co_u32 v29, vcc_lo, s18, v29
	v_add_co_ci_u32_e32 v30, vcc_lo, s19, v30, vcc_lo
	global_load_b128 v[29:32], v[29:30], off
	s_waitcnt vmcnt(0)
	ds_store_2addr_b64 v34, v[29:30], v[31:32] offset1:1
.LBB11_30:                              ;   in Loop: Header=BB11_13 Depth=1
	s_or_b32 exec_lo, exec_lo, s23
	s_waitcnt vmcnt(0) lgkmcnt(0)
	s_barrier
	buffer_gl0_inv
	s_and_saveexec_b32 s23, s4
	s_cbranch_execz .LBB11_12
; %bb.31:                               ;   in Loop: Header=BB11_13 Depth=1
	s_and_saveexec_b32 s34, s20
	s_cbranch_execz .LBB11_39
; %bb.32:                               ;   in Loop: Header=BB11_13 Depth=1
	s_and_not1_b32 vcc_lo, exec_lo, s29
	s_cbranch_vccnz .LBB11_36
; %bb.33:                               ;   in Loop: Header=BB11_13 Depth=1
	v_mov_b32_e32 v9, v37
	v_mov_b32_e32 v29, v36
	s_mov_b32 s35, 0
.LBB11_34:                              ;   Parent Loop BB11_13 Depth=1
                                        ; =>  This Inner Loop Header: Depth=2
	ds_load_b128 v[39:42], v29
	ds_load_b128 v[43:46], v9
	ds_load_b128 v[47:50], v9 offset:16
	ds_load_b128 v[51:54], v29 offset:16
	s_add_i32 s35, s35, 8
	s_delay_alu instid0(SALU_CYCLE_1) | instskip(SKIP_3) | instid1(VALU_DEP_2)
	s_cmp_lg_u32 s30, s35
	s_waitcnt lgkmcnt(2)
	v_fma_f64 v[25:26], v[43:44], v[39:40], v[25:26]
	v_fma_f64 v[27:28], v[45:46], v[39:40], v[27:28]
	v_fma_f64 v[25:26], -v[45:46], v[41:42], v[25:26]
	s_delay_alu instid0(VALU_DEP_2) | instskip(SKIP_1) | instid1(VALU_DEP_2)
	v_fma_f64 v[27:28], v[43:44], v[41:42], v[27:28]
	s_waitcnt lgkmcnt(0)
	v_fma_f64 v[25:26], v[47:48], v[51:52], v[25:26]
	s_delay_alu instid0(VALU_DEP_2) | instskip(NEXT) | instid1(VALU_DEP_2)
	v_fma_f64 v[27:28], v[49:50], v[51:52], v[27:28]
	v_fma_f64 v[30:31], -v[49:50], v[53:54], v[25:26]
	s_delay_alu instid0(VALU_DEP_2)
	v_fma_f64 v[51:52], v[47:48], v[53:54], v[27:28]
	ds_load_b128 v[25:28], v29 offset:32
	ds_load_b128 v[39:42], v9 offset:32
	;; [unrolled: 1-line block ×4, first 2 shown]
	s_waitcnt lgkmcnt(2)
	v_fma_f64 v[30:31], v[39:40], v[25:26], v[30:31]
	v_fma_f64 v[25:26], v[41:42], v[25:26], v[51:52]
	s_delay_alu instid0(VALU_DEP_2) | instskip(NEXT) | instid1(VALU_DEP_2)
	v_fma_f64 v[30:31], -v[41:42], v[27:28], v[30:31]
	v_fma_f64 v[25:26], v[39:40], v[27:28], v[25:26]
	s_waitcnt lgkmcnt(0)
	s_delay_alu instid0(VALU_DEP_2) | instskip(NEXT) | instid1(VALU_DEP_2)
	v_fma_f64 v[27:28], v[43:44], v[47:48], v[30:31]
	v_fma_f64 v[25:26], v[45:46], v[47:48], v[25:26]
	s_delay_alu instid0(VALU_DEP_2) | instskip(NEXT) | instid1(VALU_DEP_2)
	v_fma_f64 v[30:31], -v[45:46], v[49:50], v[27:28]
	v_fma_f64 v[51:52], v[43:44], v[49:50], v[25:26]
	ds_load_b128 v[25:28], v29 offset:64
	ds_load_b128 v[39:42], v9 offset:64
	ds_load_b128 v[43:46], v9 offset:80
	ds_load_b128 v[47:50], v29 offset:80
	s_waitcnt lgkmcnt(2)
	v_fma_f64 v[30:31], v[39:40], v[25:26], v[30:31]
	v_fma_f64 v[25:26], v[41:42], v[25:26], v[51:52]
	s_delay_alu instid0(VALU_DEP_2) | instskip(NEXT) | instid1(VALU_DEP_2)
	v_fma_f64 v[30:31], -v[41:42], v[27:28], v[30:31]
	v_fma_f64 v[25:26], v[39:40], v[27:28], v[25:26]
	s_waitcnt lgkmcnt(0)
	s_delay_alu instid0(VALU_DEP_2) | instskip(NEXT) | instid1(VALU_DEP_2)
	v_fma_f64 v[27:28], v[43:44], v[47:48], v[30:31]
	v_fma_f64 v[25:26], v[45:46], v[47:48], v[25:26]
	s_delay_alu instid0(VALU_DEP_2) | instskip(NEXT) | instid1(VALU_DEP_2)
	v_fma_f64 v[30:31], -v[45:46], v[49:50], v[27:28]
	v_fma_f64 v[51:52], v[43:44], v[49:50], v[25:26]
	ds_load_b128 v[25:28], v29 offset:96
	ds_load_b128 v[39:42], v9 offset:96
	;; [unrolled: 1-line block ×4, first 2 shown]
	v_add_nc_u32_e32 v29, 0x80, v29
	v_add_nc_u32_e32 v9, 0x80, v9
	s_waitcnt lgkmcnt(2)
	v_fma_f64 v[30:31], v[39:40], v[25:26], v[30:31]
	v_fma_f64 v[25:26], v[41:42], v[25:26], v[51:52]
	s_delay_alu instid0(VALU_DEP_2) | instskip(NEXT) | instid1(VALU_DEP_2)
	v_fma_f64 v[30:31], -v[41:42], v[27:28], v[30:31]
	v_fma_f64 v[25:26], v[39:40], v[27:28], v[25:26]
	s_waitcnt lgkmcnt(0)
	s_delay_alu instid0(VALU_DEP_2) | instskip(NEXT) | instid1(VALU_DEP_2)
	v_fma_f64 v[27:28], v[43:44], v[47:48], v[30:31]
	v_fma_f64 v[30:31], v[45:46], v[47:48], v[25:26]
	s_delay_alu instid0(VALU_DEP_2) | instskip(NEXT) | instid1(VALU_DEP_2)
	v_fma_f64 v[25:26], -v[45:46], v[49:50], v[27:28]
	v_fma_f64 v[27:28], v[43:44], v[49:50], v[30:31]
	s_cbranch_scc1 .LBB11_34
; %bb.35:                               ;   in Loop: Header=BB11_13 Depth=1
	s_mov_b32 s35, s30
	s_and_not1_b32 vcc_lo, exec_lo, s33
	s_cbranch_vccz .LBB11_37
	s_branch .LBB11_39
.LBB11_36:                              ;   in Loop: Header=BB11_13 Depth=1
	s_mov_b32 s35, 0
	s_and_not1_b32 vcc_lo, exec_lo, s33
	s_cbranch_vccnz .LBB11_39
.LBB11_37:                              ;   in Loop: Header=BB11_13 Depth=1
	s_lshl_b32 s35, s35, 4
	s_delay_alu instid0(SALU_CYCLE_1)
	v_add_nc_u32_e32 v9, s35, v36
	v_add_nc_u32_e32 v29, s35, v37
	s_mov_b32 s35, s28
	.p2align	6
.LBB11_38:                              ;   Parent Loop BB11_13 Depth=1
                                        ; =>  This Inner Loop Header: Depth=2
	ds_load_b128 v[39:42], v29
	ds_load_b128 v[43:46], v9
	v_add_nc_u32_e32 v9, 16, v9
	v_add_nc_u32_e32 v29, 16, v29
	s_add_i32 s35, s35, -1
	s_delay_alu instid0(SALU_CYCLE_1) | instskip(SKIP_3) | instid1(VALU_DEP_2)
	s_cmp_lg_u32 s35, 0
	s_waitcnt lgkmcnt(0)
	v_fma_f64 v[25:26], v[39:40], v[43:44], v[25:26]
	v_fma_f64 v[27:28], v[41:42], v[43:44], v[27:28]
	v_fma_f64 v[25:26], -v[41:42], v[45:46], v[25:26]
	s_delay_alu instid0(VALU_DEP_2)
	v_fma_f64 v[27:28], v[39:40], v[45:46], v[27:28]
	s_cbranch_scc1 .LBB11_38
.LBB11_39:                              ;   in Loop: Header=BB11_13 Depth=1
	s_or_b32 exec_lo, exec_lo, s34
	s_and_saveexec_b32 s34, s27
	s_cbranch_execz .LBB11_11
; %bb.40:                               ;   in Loop: Header=BB11_13 Depth=1
	s_and_not1_b32 vcc_lo, exec_lo, s29
	s_cbranch_vccnz .LBB11_44
; %bb.41:                               ;   in Loop: Header=BB11_13 Depth=1
	v_mov_b32_e32 v9, v37
	v_mov_b32_e32 v29, v38
	s_mov_b32 s35, 0
.LBB11_42:                              ;   Parent Loop BB11_13 Depth=1
                                        ; =>  This Inner Loop Header: Depth=2
	ds_load_b128 v[39:42], v29
	ds_load_b128 v[43:46], v9
	ds_load_b128 v[47:50], v9 offset:16
	ds_load_b128 v[51:54], v29 offset:16
	s_add_i32 s35, s35, 8
	s_delay_alu instid0(SALU_CYCLE_1) | instskip(SKIP_3) | instid1(VALU_DEP_2)
	s_cmp_lg_u32 s30, s35
	s_waitcnt lgkmcnt(2)
	v_fma_f64 v[14:15], v[43:44], v[39:40], v[14:15]
	v_fma_f64 v[12:13], v[45:46], v[39:40], v[12:13]
	v_fma_f64 v[14:15], -v[45:46], v[41:42], v[14:15]
	s_delay_alu instid0(VALU_DEP_2) | instskip(SKIP_1) | instid1(VALU_DEP_2)
	v_fma_f64 v[12:13], v[43:44], v[41:42], v[12:13]
	s_waitcnt lgkmcnt(0)
	v_fma_f64 v[14:15], v[47:48], v[51:52], v[14:15]
	s_delay_alu instid0(VALU_DEP_2) | instskip(NEXT) | instid1(VALU_DEP_2)
	v_fma_f64 v[12:13], v[49:50], v[51:52], v[12:13]
	v_fma_f64 v[30:31], -v[49:50], v[53:54], v[14:15]
	s_delay_alu instid0(VALU_DEP_2)
	v_fma_f64 v[51:52], v[47:48], v[53:54], v[12:13]
	ds_load_b128 v[12:15], v29 offset:32
	ds_load_b128 v[39:42], v9 offset:32
	;; [unrolled: 1-line block ×4, first 2 shown]
	s_waitcnt lgkmcnt(2)
	v_fma_f64 v[30:31], v[39:40], v[12:13], v[30:31]
	v_fma_f64 v[12:13], v[41:42], v[12:13], v[51:52]
	s_delay_alu instid0(VALU_DEP_2) | instskip(NEXT) | instid1(VALU_DEP_2)
	v_fma_f64 v[30:31], -v[41:42], v[14:15], v[30:31]
	v_fma_f64 v[12:13], v[39:40], v[14:15], v[12:13]
	s_waitcnt lgkmcnt(0)
	s_delay_alu instid0(VALU_DEP_2) | instskip(NEXT) | instid1(VALU_DEP_2)
	v_fma_f64 v[14:15], v[43:44], v[47:48], v[30:31]
	v_fma_f64 v[12:13], v[45:46], v[47:48], v[12:13]
	s_delay_alu instid0(VALU_DEP_2) | instskip(NEXT) | instid1(VALU_DEP_2)
	v_fma_f64 v[30:31], -v[45:46], v[49:50], v[14:15]
	v_fma_f64 v[51:52], v[43:44], v[49:50], v[12:13]
	ds_load_b128 v[12:15], v29 offset:64
	ds_load_b128 v[39:42], v9 offset:64
	;; [unrolled: 1-line block ×4, first 2 shown]
	s_waitcnt lgkmcnt(2)
	v_fma_f64 v[30:31], v[39:40], v[12:13], v[30:31]
	v_fma_f64 v[12:13], v[41:42], v[12:13], v[51:52]
	s_delay_alu instid0(VALU_DEP_2) | instskip(NEXT) | instid1(VALU_DEP_2)
	v_fma_f64 v[30:31], -v[41:42], v[14:15], v[30:31]
	v_fma_f64 v[12:13], v[39:40], v[14:15], v[12:13]
	s_waitcnt lgkmcnt(0)
	s_delay_alu instid0(VALU_DEP_2) | instskip(NEXT) | instid1(VALU_DEP_2)
	v_fma_f64 v[14:15], v[43:44], v[47:48], v[30:31]
	v_fma_f64 v[12:13], v[45:46], v[47:48], v[12:13]
	s_delay_alu instid0(VALU_DEP_2) | instskip(NEXT) | instid1(VALU_DEP_2)
	v_fma_f64 v[30:31], -v[45:46], v[49:50], v[14:15]
	v_fma_f64 v[51:52], v[43:44], v[49:50], v[12:13]
	ds_load_b128 v[12:15], v29 offset:96
	ds_load_b128 v[39:42], v9 offset:96
	;; [unrolled: 1-line block ×4, first 2 shown]
	v_add_nc_u32_e32 v29, 0x80, v29
	v_add_nc_u32_e32 v9, 0x80, v9
	s_waitcnt lgkmcnt(2)
	v_fma_f64 v[30:31], v[39:40], v[12:13], v[30:31]
	v_fma_f64 v[12:13], v[41:42], v[12:13], v[51:52]
	s_delay_alu instid0(VALU_DEP_2) | instskip(NEXT) | instid1(VALU_DEP_2)
	v_fma_f64 v[30:31], -v[41:42], v[14:15], v[30:31]
	v_fma_f64 v[12:13], v[39:40], v[14:15], v[12:13]
	s_waitcnt lgkmcnt(0)
	s_delay_alu instid0(VALU_DEP_2) | instskip(NEXT) | instid1(VALU_DEP_2)
	v_fma_f64 v[14:15], v[43:44], v[47:48], v[30:31]
	v_fma_f64 v[12:13], v[45:46], v[47:48], v[12:13]
	s_delay_alu instid0(VALU_DEP_2) | instskip(NEXT) | instid1(VALU_DEP_2)
	v_fma_f64 v[14:15], -v[45:46], v[49:50], v[14:15]
	v_fma_f64 v[12:13], v[43:44], v[49:50], v[12:13]
	s_cbranch_scc1 .LBB11_42
; %bb.43:                               ;   in Loop: Header=BB11_13 Depth=1
	s_mov_b32 s35, s30
	s_and_not1_b32 vcc_lo, exec_lo, s33
	s_cbranch_vccz .LBB11_45
	s_branch .LBB11_11
.LBB11_44:                              ;   in Loop: Header=BB11_13 Depth=1
	s_mov_b32 s35, 0
	s_and_not1_b32 vcc_lo, exec_lo, s33
	s_cbranch_vccnz .LBB11_11
.LBB11_45:                              ;   in Loop: Header=BB11_13 Depth=1
	s_lshl_b32 s35, s35, 4
	s_delay_alu instid0(SALU_CYCLE_1)
	v_add_nc_u32_e32 v9, s35, v38
	v_add_nc_u32_e32 v29, s35, v37
	s_mov_b32 s35, s28
	.p2align	6
.LBB11_46:                              ;   Parent Loop BB11_13 Depth=1
                                        ; =>  This Inner Loop Header: Depth=2
	ds_load_b128 v[39:42], v29
	ds_load_b128 v[43:46], v9
	v_add_nc_u32_e32 v9, 16, v9
	v_add_nc_u32_e32 v29, 16, v29
	s_add_i32 s35, s35, -1
	s_delay_alu instid0(SALU_CYCLE_1) | instskip(SKIP_3) | instid1(VALU_DEP_2)
	s_cmp_lg_u32 s35, 0
	s_waitcnt lgkmcnt(0)
	v_fma_f64 v[14:15], v[39:40], v[43:44], v[14:15]
	v_fma_f64 v[12:13], v[41:42], v[43:44], v[12:13]
	v_fma_f64 v[14:15], -v[41:42], v[45:46], v[14:15]
	s_delay_alu instid0(VALU_DEP_2)
	v_fma_f64 v[12:13], v[39:40], v[45:46], v[12:13]
	s_cbranch_scc1 .LBB11_46
	s_branch .LBB11_11
.LBB11_47:
	s_delay_alu instid0(VALU_DEP_1) | instskip(NEXT) | instid1(SALU_CYCLE_1)
	s_and_b32 s4, s13, s4
	s_and_b32 exec_lo, exec_lo, s4
	s_cbranch_execz .LBB11_58
; %bb.48:
	s_waitcnt vmcnt(0)
	v_cmp_neq_f64_e32 vcc_lo, 0, v[4:5]
	v_cmp_neq_f64_e64 s4, 0, v[6:7]
	v_mad_u64_u32 v[16:17], null, s14, s10, v[10:11]
	s_load_b64 s[8:9], s[2:3], 0x68
	s_delay_alu instid0(VALU_DEP_1) | instskip(NEXT) | instid1(VALU_DEP_1)
	v_ashrrev_i32_e32 v17, 31, v16
	v_lshlrev_b64 v[9:10], 4, v[16:17]
	s_delay_alu instid0(VALU_DEP_1) | instskip(NEXT) | instid1(VALU_DEP_1)
	v_add_co_u32 v9, s2, s6, v9
	v_add_co_ci_u32_e64 v10, s2, s7, v10, s2
	s_or_b32 s2, vcc_lo, s4
	s_and_saveexec_b32 s3, s1
	s_cbranch_execz .LBB11_53
; %bb.49:
	s_and_saveexec_b32 s1, s2
	s_delay_alu instid0(SALU_CYCLE_1)
	s_xor_b32 s1, exec_lo, s1
	s_cbranch_execz .LBB11_51
; %bb.50:
	v_ashrrev_i32_e32 v18, 31, v11
	s_waitcnt lgkmcnt(0)
	v_mul_lo_u32 v19, v11, s9
	v_mad_u64_u32 v[16:17], null, v11, s8, 0
	v_mul_f64 v[22:23], v[27:28], -v[2:3]
	v_mul_lo_u32 v11, v18, s8
	v_mul_f64 v[27:28], v[0:1], v[27:28]
	s_delay_alu instid0(VALU_DEP_2) | instskip(NEXT) | instid1(VALU_DEP_1)
	v_add3_u32 v17, v17, v19, v11
                                        ; implicit-def: $vgpr11
	v_lshlrev_b64 v[16:17], 4, v[16:17]
	s_delay_alu instid0(VALU_DEP_1) | instskip(NEXT) | instid1(VALU_DEP_2)
	v_add_co_u32 v20, vcc_lo, v9, v16
	v_add_co_ci_u32_e32 v21, vcc_lo, v10, v17, vcc_lo
	global_load_b128 v[16:19], v[20:21], off
	v_fma_f64 v[22:23], v[0:1], v[25:26], v[22:23]
	v_fma_f64 v[24:25], v[2:3], v[25:26], v[27:28]
                                        ; implicit-def: $vgpr27_vgpr28
	s_waitcnt vmcnt(0)
	s_delay_alu instid0(VALU_DEP_2) | instskip(NEXT) | instid1(VALU_DEP_2)
	v_fma_f64 v[22:23], v[4:5], v[16:17], v[22:23]
	v_fma_f64 v[24:25], v[6:7], v[16:17], v[24:25]
	s_delay_alu instid0(VALU_DEP_2) | instskip(NEXT) | instid1(VALU_DEP_2)
	v_fma_f64 v[16:17], -v[6:7], v[18:19], v[22:23]
	v_fma_f64 v[18:19], v[4:5], v[18:19], v[24:25]
                                        ; implicit-def: $vgpr25_vgpr26
	global_store_b128 v[20:21], v[16:19], off
.LBB11_51:
	s_and_not1_saveexec_b32 s1, s1
	s_cbranch_execz .LBB11_53
; %bb.52:
	v_mul_f64 v[16:17], v[27:28], -v[2:3]
	v_mul_f64 v[18:19], v[0:1], v[27:28]
	v_ashrrev_i32_e32 v20, 31, v11
	s_waitcnt lgkmcnt(0)
	v_mul_lo_u32 v22, v11, s9
	s_delay_alu instid0(VALU_DEP_2) | instskip(SKIP_1) | instid1(VALU_DEP_1)
	v_mul_lo_u32 v23, v20, s8
	v_mad_u64_u32 v[20:21], null, v11, s8, 0
	v_add3_u32 v21, v21, v22, v23
	s_delay_alu instid0(VALU_DEP_1) | instskip(NEXT) | instid1(VALU_DEP_1)
	v_lshlrev_b64 v[20:21], 4, v[20:21]
	v_add_co_u32 v20, vcc_lo, v9, v20
	s_delay_alu instid0(VALU_DEP_2)
	v_add_co_ci_u32_e32 v21, vcc_lo, v10, v21, vcc_lo
	v_fma_f64 v[16:17], v[0:1], v[25:26], v[16:17]
	v_fma_f64 v[18:19], v[2:3], v[25:26], v[18:19]
	global_store_b128 v[20:21], v[16:19], off
.LBB11_53:
	s_or_b32 exec_lo, exec_lo, s3
	s_delay_alu instid0(SALU_CYCLE_1)
	s_and_b32 exec_lo, exec_lo, s0
	s_cbranch_execz .LBB11_58
; %bb.54:
	s_and_saveexec_b32 s0, s2
	s_delay_alu instid0(SALU_CYCLE_1)
	s_xor_b32 s0, exec_lo, s0
	s_cbranch_execz .LBB11_56
; %bb.55:
	v_ashrrev_i32_e32 v11, 31, v8
	s_waitcnt lgkmcnt(0)
	v_mul_lo_u32 v18, v8, s9
	v_mad_u64_u32 v[16:17], null, v8, s8, 0
	s_delay_alu instid0(VALU_DEP_3) | instskip(NEXT) | instid1(VALU_DEP_1)
	v_mul_lo_u32 v8, v11, s8
	v_add3_u32 v17, v17, v18, v8
	v_mul_f64 v[18:19], v[12:13], -v[2:3]
	v_mul_f64 v[12:13], v[0:1], v[12:13]
	s_delay_alu instid0(VALU_DEP_3) | instskip(NEXT) | instid1(VALU_DEP_1)
	v_lshlrev_b64 v[16:17], 4, v[16:17]
	v_add_co_u32 v16, vcc_lo, v9, v16
	s_delay_alu instid0(VALU_DEP_2) | instskip(SKIP_4) | instid1(VALU_DEP_2)
	v_add_co_ci_u32_e32 v17, vcc_lo, v10, v17, vcc_lo
	global_load_b128 v[8:11], v[16:17], off
	v_fma_f64 v[0:1], v[0:1], v[14:15], v[18:19]
	v_fma_f64 v[2:3], v[2:3], v[14:15], v[12:13]
                                        ; implicit-def: $vgpr12_vgpr13
                                        ; implicit-def: $vgpr14_vgpr15
	s_waitcnt vmcnt(0)
	v_fma_f64 v[0:1], v[4:5], v[8:9], v[0:1]
	s_delay_alu instid0(VALU_DEP_2) | instskip(NEXT) | instid1(VALU_DEP_2)
	v_fma_f64 v[2:3], v[6:7], v[8:9], v[2:3]
                                        ; implicit-def: $vgpr8
                                        ; implicit-def: $vgpr9
	v_fma_f64 v[0:1], -v[6:7], v[10:11], v[0:1]
	s_delay_alu instid0(VALU_DEP_2)
	v_fma_f64 v[2:3], v[4:5], v[10:11], v[2:3]
                                        ; implicit-def: $vgpr10
	global_store_b128 v[16:17], v[0:3], off
                                        ; implicit-def: $vgpr2_vgpr3
                                        ; implicit-def: $vgpr0_vgpr1
.LBB11_56:
	s_and_not1_saveexec_b32 s0, s0
	s_cbranch_execz .LBB11_58
; %bb.57:
	v_mul_f64 v[4:5], v[12:13], -v[2:3]
	v_mul_f64 v[6:7], v[0:1], v[12:13]
	s_delay_alu instid0(VALU_DEP_2) | instskip(NEXT) | instid1(VALU_DEP_2)
	v_fma_f64 v[0:1], v[0:1], v[14:15], v[4:5]
	v_fma_f64 v[2:3], v[2:3], v[14:15], v[6:7]
	v_ashrrev_i32_e32 v4, 31, v8
	s_waitcnt lgkmcnt(0)
	v_mul_lo_u32 v6, v8, s9
	s_delay_alu instid0(VALU_DEP_2) | instskip(SKIP_1) | instid1(VALU_DEP_1)
	v_mul_lo_u32 v7, v4, s8
	v_mad_u64_u32 v[4:5], null, v8, s8, 0
	v_add3_u32 v5, v5, v6, v7
	s_delay_alu instid0(VALU_DEP_1) | instskip(NEXT) | instid1(VALU_DEP_1)
	v_lshlrev_b64 v[4:5], 4, v[4:5]
	v_add_co_u32 v4, vcc_lo, v9, v4
	s_delay_alu instid0(VALU_DEP_2)
	v_add_co_ci_u32_e32 v5, vcc_lo, v10, v5, vcc_lo
	global_store_b128 v[4:5], v[0:3], off
.LBB11_58:
	s_nop 0
	s_sendmsg sendmsg(MSG_DEALLOC_VGPRS)
	s_endpgm
	.section	.rodata,"a",@progbits
	.p2align	6, 0x0
	.amdhsa_kernel _ZN9rocsparseL33gebsrmm_large_blockdim_kernel_extILi32ELi32ELi2E21rocsparse_complex_numIdEEEv20rocsparse_direction_20rocsparse_operation_iiNS_24const_host_device_scalarIT2_EEPKiS9_PKS6_iiSB_lS7_PS6_l21rocsparse_index_base_b
		.amdhsa_group_segment_fixed_size 65536
		.amdhsa_private_segment_fixed_size 0
		.amdhsa_kernarg_size 120
		.amdhsa_user_sgpr_count 14
		.amdhsa_user_sgpr_dispatch_ptr 1
		.amdhsa_user_sgpr_queue_ptr 0
		.amdhsa_user_sgpr_kernarg_segment_ptr 1
		.amdhsa_user_sgpr_dispatch_id 0
		.amdhsa_user_sgpr_private_segment_size 0
		.amdhsa_wavefront_size32 1
		.amdhsa_uses_dynamic_stack 0
		.amdhsa_enable_private_segment 0
		.amdhsa_system_sgpr_workgroup_id_x 1
		.amdhsa_system_sgpr_workgroup_id_y 1
		.amdhsa_system_sgpr_workgroup_id_z 0
		.amdhsa_system_sgpr_workgroup_info 0
		.amdhsa_system_vgpr_workitem_id 2
		.amdhsa_next_free_vgpr 55
		.amdhsa_next_free_sgpr 38
		.amdhsa_reserve_vcc 1
		.amdhsa_float_round_mode_32 0
		.amdhsa_float_round_mode_16_64 0
		.amdhsa_float_denorm_mode_32 3
		.amdhsa_float_denorm_mode_16_64 3
		.amdhsa_dx10_clamp 1
		.amdhsa_ieee_mode 1
		.amdhsa_fp16_overflow 0
		.amdhsa_workgroup_processor_mode 1
		.amdhsa_memory_ordered 1
		.amdhsa_forward_progress 0
		.amdhsa_shared_vgpr_count 0
		.amdhsa_exception_fp_ieee_invalid_op 0
		.amdhsa_exception_fp_denorm_src 0
		.amdhsa_exception_fp_ieee_div_zero 0
		.amdhsa_exception_fp_ieee_overflow 0
		.amdhsa_exception_fp_ieee_underflow 0
		.amdhsa_exception_fp_ieee_inexact 0
		.amdhsa_exception_int_div_zero 0
	.end_amdhsa_kernel
	.section	.text._ZN9rocsparseL33gebsrmm_large_blockdim_kernel_extILi32ELi32ELi2E21rocsparse_complex_numIdEEEv20rocsparse_direction_20rocsparse_operation_iiNS_24const_host_device_scalarIT2_EEPKiS9_PKS6_iiSB_lS7_PS6_l21rocsparse_index_base_b,"axG",@progbits,_ZN9rocsparseL33gebsrmm_large_blockdim_kernel_extILi32ELi32ELi2E21rocsparse_complex_numIdEEEv20rocsparse_direction_20rocsparse_operation_iiNS_24const_host_device_scalarIT2_EEPKiS9_PKS6_iiSB_lS7_PS6_l21rocsparse_index_base_b,comdat
.Lfunc_end11:
	.size	_ZN9rocsparseL33gebsrmm_large_blockdim_kernel_extILi32ELi32ELi2E21rocsparse_complex_numIdEEEv20rocsparse_direction_20rocsparse_operation_iiNS_24const_host_device_scalarIT2_EEPKiS9_PKS6_iiSB_lS7_PS6_l21rocsparse_index_base_b, .Lfunc_end11-_ZN9rocsparseL33gebsrmm_large_blockdim_kernel_extILi32ELi32ELi2E21rocsparse_complex_numIdEEEv20rocsparse_direction_20rocsparse_operation_iiNS_24const_host_device_scalarIT2_EEPKiS9_PKS6_iiSB_lS7_PS6_l21rocsparse_index_base_b
                                        ; -- End function
	.section	.AMDGPU.csdata,"",@progbits
; Kernel info:
; codeLenInByte = 3464
; NumSgprs: 40
; NumVgprs: 55
; ScratchSize: 0
; MemoryBound: 0
; FloatMode: 240
; IeeeMode: 1
; LDSByteSize: 65536 bytes/workgroup (compile time only)
; SGPRBlocks: 4
; VGPRBlocks: 6
; NumSGPRsForWavesPerEU: 40
; NumVGPRsForWavesPerEU: 55
; Occupancy: 16
; WaveLimiterHint : 0
; COMPUTE_PGM_RSRC2:SCRATCH_EN: 0
; COMPUTE_PGM_RSRC2:USER_SGPR: 14
; COMPUTE_PGM_RSRC2:TRAP_HANDLER: 0
; COMPUTE_PGM_RSRC2:TGID_X_EN: 1
; COMPUTE_PGM_RSRC2:TGID_Y_EN: 1
; COMPUTE_PGM_RSRC2:TGID_Z_EN: 0
; COMPUTE_PGM_RSRC2:TIDIG_COMP_CNT: 2
	.text
	.p2alignl 7, 3214868480
	.fill 96, 4, 3214868480
	.type	__hip_cuid_52e3cd46ce883ee2,@object ; @__hip_cuid_52e3cd46ce883ee2
	.section	.bss,"aw",@nobits
	.globl	__hip_cuid_52e3cd46ce883ee2
__hip_cuid_52e3cd46ce883ee2:
	.byte	0                               ; 0x0
	.size	__hip_cuid_52e3cd46ce883ee2, 1

	.ident	"AMD clang version 19.0.0git (https://github.com/RadeonOpenCompute/llvm-project roc-6.4.0 25133 c7fe45cf4b819c5991fe208aaa96edf142730f1d)"
	.section	".note.GNU-stack","",@progbits
	.addrsig
	.addrsig_sym __hip_cuid_52e3cd46ce883ee2
	.amdgpu_metadata
---
amdhsa.kernels:
  - .args:
      - .offset:         0
        .size:           4
        .value_kind:     by_value
      - .offset:         4
        .size:           4
        .value_kind:     by_value
      - .offset:         8
        .size:           4
        .value_kind:     by_value
      - .offset:         12
        .size:           4
        .value_kind:     by_value
      - .offset:         16
        .size:           8
        .value_kind:     by_value
      - .actual_access:  read_only
        .address_space:  global
        .offset:         24
        .size:           8
        .value_kind:     global_buffer
      - .actual_access:  read_only
        .address_space:  global
        .offset:         32
        .size:           8
        .value_kind:     global_buffer
      - .actual_access:  read_only
        .address_space:  global
        .offset:         40
        .size:           8
        .value_kind:     global_buffer
      - .offset:         48
        .size:           4
        .value_kind:     by_value
      - .offset:         52
        .size:           4
        .value_kind:     by_value
      - .actual_access:  read_only
        .address_space:  global
        .offset:         56
        .size:           8
        .value_kind:     global_buffer
      - .offset:         64
        .size:           8
        .value_kind:     by_value
      - .offset:         72
        .size:           8
        .value_kind:     by_value
      - .address_space:  global
        .offset:         80
        .size:           8
        .value_kind:     global_buffer
      - .offset:         88
        .size:           8
        .value_kind:     by_value
      - .offset:         96
        .size:           4
        .value_kind:     by_value
      - .offset:         100
        .size:           1
        .value_kind:     by_value
    .group_segment_fixed_size: 768
    .kernarg_segment_align: 8
    .kernarg_segment_size: 104
    .language:       OpenCL C
    .language_version:
      - 2
      - 0
    .max_flat_workgroup_size: 64
    .name:           _ZN9rocsparseL33gebsrmm_large_blockdim_kernel_extILi8ELi8ELi2EfEEv20rocsparse_direction_20rocsparse_operation_iiNS_24const_host_device_scalarIT2_EEPKiS7_PKS4_iiS9_lS5_PS4_l21rocsparse_index_base_b
    .private_segment_fixed_size: 0
    .sgpr_count:     42
    .sgpr_spill_count: 0
    .symbol:         _ZN9rocsparseL33gebsrmm_large_blockdim_kernel_extILi8ELi8ELi2EfEEv20rocsparse_direction_20rocsparse_operation_iiNS_24const_host_device_scalarIT2_EEPKiS7_PKS4_iiS9_lS5_PS4_l21rocsparse_index_base_b.kd
    .uniform_work_group_size: 1
    .uses_dynamic_stack: false
    .vgpr_count:     37
    .vgpr_spill_count: 0
    .wavefront_size: 32
    .workgroup_processor_mode: 1
  - .args:
      - .offset:         0
        .size:           4
        .value_kind:     by_value
      - .offset:         4
        .size:           4
        .value_kind:     by_value
      - .offset:         8
        .size:           4
        .value_kind:     by_value
      - .offset:         12
        .size:           4
        .value_kind:     by_value
      - .offset:         16
        .size:           8
        .value_kind:     by_value
      - .actual_access:  read_only
        .address_space:  global
        .offset:         24
        .size:           8
        .value_kind:     global_buffer
      - .actual_access:  read_only
        .address_space:  global
        .offset:         32
        .size:           8
        .value_kind:     global_buffer
      - .actual_access:  read_only
        .address_space:  global
        .offset:         40
        .size:           8
        .value_kind:     global_buffer
      - .offset:         48
        .size:           4
        .value_kind:     by_value
      - .offset:         52
        .size:           4
        .value_kind:     by_value
      - .actual_access:  read_only
        .address_space:  global
        .offset:         56
        .size:           8
        .value_kind:     global_buffer
      - .offset:         64
        .size:           8
        .value_kind:     by_value
      - .offset:         72
        .size:           8
        .value_kind:     by_value
      - .address_space:  global
        .offset:         80
        .size:           8
        .value_kind:     global_buffer
      - .offset:         88
        .size:           8
        .value_kind:     by_value
      - .offset:         96
        .size:           4
        .value_kind:     by_value
      - .offset:         100
        .size:           1
        .value_kind:     by_value
    .group_segment_fixed_size: 3072
    .kernarg_segment_align: 8
    .kernarg_segment_size: 104
    .language:       OpenCL C
    .language_version:
      - 2
      - 0
    .max_flat_workgroup_size: 256
    .name:           _ZN9rocsparseL33gebsrmm_large_blockdim_kernel_extILi16ELi16ELi2EfEEv20rocsparse_direction_20rocsparse_operation_iiNS_24const_host_device_scalarIT2_EEPKiS7_PKS4_iiS9_lS5_PS4_l21rocsparse_index_base_b
    .private_segment_fixed_size: 0
    .sgpr_count:     42
    .sgpr_spill_count: 0
    .symbol:         _ZN9rocsparseL33gebsrmm_large_blockdim_kernel_extILi16ELi16ELi2EfEEv20rocsparse_direction_20rocsparse_operation_iiNS_24const_host_device_scalarIT2_EEPKiS7_PKS4_iiS9_lS5_PS4_l21rocsparse_index_base_b.kd
    .uniform_work_group_size: 1
    .uses_dynamic_stack: false
    .vgpr_count:     37
    .vgpr_spill_count: 0
    .wavefront_size: 32
    .workgroup_processor_mode: 1
  - .args:
      - .offset:         0
        .size:           4
        .value_kind:     by_value
      - .offset:         4
        .size:           4
        .value_kind:     by_value
      - .offset:         8
        .size:           4
        .value_kind:     by_value
      - .offset:         12
        .size:           4
        .value_kind:     by_value
      - .offset:         16
        .size:           8
        .value_kind:     by_value
      - .actual_access:  read_only
        .address_space:  global
        .offset:         24
        .size:           8
        .value_kind:     global_buffer
      - .actual_access:  read_only
        .address_space:  global
        .offset:         32
        .size:           8
        .value_kind:     global_buffer
      - .actual_access:  read_only
        .address_space:  global
        .offset:         40
        .size:           8
        .value_kind:     global_buffer
      - .offset:         48
        .size:           4
        .value_kind:     by_value
      - .offset:         52
        .size:           4
        .value_kind:     by_value
      - .actual_access:  read_only
        .address_space:  global
        .offset:         56
        .size:           8
        .value_kind:     global_buffer
      - .offset:         64
        .size:           8
        .value_kind:     by_value
      - .offset:         72
        .size:           8
        .value_kind:     by_value
      - .address_space:  global
        .offset:         80
        .size:           8
        .value_kind:     global_buffer
      - .offset:         88
        .size:           8
        .value_kind:     by_value
      - .offset:         96
        .size:           4
        .value_kind:     by_value
      - .offset:         100
        .size:           1
        .value_kind:     by_value
    .group_segment_fixed_size: 12288
    .kernarg_segment_align: 8
    .kernarg_segment_size: 104
    .language:       OpenCL C
    .language_version:
      - 2
      - 0
    .max_flat_workgroup_size: 1024
    .name:           _ZN9rocsparseL33gebsrmm_large_blockdim_kernel_extILi32ELi32ELi2EfEEv20rocsparse_direction_20rocsparse_operation_iiNS_24const_host_device_scalarIT2_EEPKiS7_PKS4_iiS9_lS5_PS4_l21rocsparse_index_base_b
    .private_segment_fixed_size: 0
    .sgpr_count:     42
    .sgpr_spill_count: 0
    .symbol:         _ZN9rocsparseL33gebsrmm_large_blockdim_kernel_extILi32ELi32ELi2EfEEv20rocsparse_direction_20rocsparse_operation_iiNS_24const_host_device_scalarIT2_EEPKiS7_PKS4_iiS9_lS5_PS4_l21rocsparse_index_base_b.kd
    .uniform_work_group_size: 1
    .uses_dynamic_stack: false
    .vgpr_count:     37
    .vgpr_spill_count: 0
    .wavefront_size: 32
    .workgroup_processor_mode: 1
  - .args:
      - .offset:         0
        .size:           4
        .value_kind:     by_value
      - .offset:         4
        .size:           4
        .value_kind:     by_value
      - .offset:         8
        .size:           4
        .value_kind:     by_value
      - .offset:         12
        .size:           4
        .value_kind:     by_value
      - .offset:         16
        .size:           8
        .value_kind:     by_value
      - .actual_access:  read_only
        .address_space:  global
        .offset:         24
        .size:           8
        .value_kind:     global_buffer
      - .actual_access:  read_only
        .address_space:  global
        .offset:         32
        .size:           8
        .value_kind:     global_buffer
      - .actual_access:  read_only
        .address_space:  global
        .offset:         40
        .size:           8
        .value_kind:     global_buffer
      - .offset:         48
        .size:           4
        .value_kind:     by_value
      - .offset:         52
        .size:           4
        .value_kind:     by_value
      - .actual_access:  read_only
        .address_space:  global
        .offset:         56
        .size:           8
        .value_kind:     global_buffer
      - .offset:         64
        .size:           8
        .value_kind:     by_value
      - .offset:         72
        .size:           8
        .value_kind:     by_value
      - .address_space:  global
        .offset:         80
        .size:           8
        .value_kind:     global_buffer
      - .offset:         88
        .size:           8
        .value_kind:     by_value
      - .offset:         96
        .size:           4
        .value_kind:     by_value
      - .offset:         100
        .size:           1
        .value_kind:     by_value
    .group_segment_fixed_size: 1536
    .kernarg_segment_align: 8
    .kernarg_segment_size: 104
    .language:       OpenCL C
    .language_version:
      - 2
      - 0
    .max_flat_workgroup_size: 64
    .name:           _ZN9rocsparseL33gebsrmm_large_blockdim_kernel_extILi8ELi8ELi2EdEEv20rocsparse_direction_20rocsparse_operation_iiNS_24const_host_device_scalarIT2_EEPKiS7_PKS4_iiS9_lS5_PS4_l21rocsparse_index_base_b
    .private_segment_fixed_size: 0
    .sgpr_count:     40
    .sgpr_spill_count: 0
    .symbol:         _ZN9rocsparseL33gebsrmm_large_blockdim_kernel_extILi8ELi8ELi2EdEEv20rocsparse_direction_20rocsparse_operation_iiNS_24const_host_device_scalarIT2_EEPKiS7_PKS4_iiS9_lS5_PS4_l21rocsparse_index_base_b.kd
    .uniform_work_group_size: 1
    .uses_dynamic_stack: false
    .vgpr_count:     43
    .vgpr_spill_count: 0
    .wavefront_size: 32
    .workgroup_processor_mode: 1
  - .args:
      - .offset:         0
        .size:           4
        .value_kind:     by_value
      - .offset:         4
        .size:           4
        .value_kind:     by_value
      - .offset:         8
        .size:           4
        .value_kind:     by_value
      - .offset:         12
        .size:           4
        .value_kind:     by_value
      - .offset:         16
        .size:           8
        .value_kind:     by_value
      - .actual_access:  read_only
        .address_space:  global
        .offset:         24
        .size:           8
        .value_kind:     global_buffer
      - .actual_access:  read_only
        .address_space:  global
        .offset:         32
        .size:           8
        .value_kind:     global_buffer
      - .actual_access:  read_only
        .address_space:  global
        .offset:         40
        .size:           8
        .value_kind:     global_buffer
      - .offset:         48
        .size:           4
        .value_kind:     by_value
      - .offset:         52
        .size:           4
        .value_kind:     by_value
      - .actual_access:  read_only
        .address_space:  global
        .offset:         56
        .size:           8
        .value_kind:     global_buffer
      - .offset:         64
        .size:           8
        .value_kind:     by_value
      - .offset:         72
        .size:           8
        .value_kind:     by_value
      - .address_space:  global
        .offset:         80
        .size:           8
        .value_kind:     global_buffer
      - .offset:         88
        .size:           8
        .value_kind:     by_value
      - .offset:         96
        .size:           4
        .value_kind:     by_value
      - .offset:         100
        .size:           1
        .value_kind:     by_value
    .group_segment_fixed_size: 6144
    .kernarg_segment_align: 8
    .kernarg_segment_size: 104
    .language:       OpenCL C
    .language_version:
      - 2
      - 0
    .max_flat_workgroup_size: 256
    .name:           _ZN9rocsparseL33gebsrmm_large_blockdim_kernel_extILi16ELi16ELi2EdEEv20rocsparse_direction_20rocsparse_operation_iiNS_24const_host_device_scalarIT2_EEPKiS7_PKS4_iiS9_lS5_PS4_l21rocsparse_index_base_b
    .private_segment_fixed_size: 0
    .sgpr_count:     40
    .sgpr_spill_count: 0
    .symbol:         _ZN9rocsparseL33gebsrmm_large_blockdim_kernel_extILi16ELi16ELi2EdEEv20rocsparse_direction_20rocsparse_operation_iiNS_24const_host_device_scalarIT2_EEPKiS7_PKS4_iiS9_lS5_PS4_l21rocsparse_index_base_b.kd
    .uniform_work_group_size: 1
    .uses_dynamic_stack: false
    .vgpr_count:     43
    .vgpr_spill_count: 0
    .wavefront_size: 32
    .workgroup_processor_mode: 1
  - .args:
      - .offset:         0
        .size:           4
        .value_kind:     by_value
      - .offset:         4
        .size:           4
        .value_kind:     by_value
      - .offset:         8
        .size:           4
        .value_kind:     by_value
      - .offset:         12
        .size:           4
        .value_kind:     by_value
      - .offset:         16
        .size:           8
        .value_kind:     by_value
      - .actual_access:  read_only
        .address_space:  global
        .offset:         24
        .size:           8
        .value_kind:     global_buffer
      - .actual_access:  read_only
        .address_space:  global
        .offset:         32
        .size:           8
        .value_kind:     global_buffer
      - .actual_access:  read_only
        .address_space:  global
        .offset:         40
        .size:           8
        .value_kind:     global_buffer
      - .offset:         48
        .size:           4
        .value_kind:     by_value
      - .offset:         52
        .size:           4
        .value_kind:     by_value
      - .actual_access:  read_only
        .address_space:  global
        .offset:         56
        .size:           8
        .value_kind:     global_buffer
      - .offset:         64
        .size:           8
        .value_kind:     by_value
      - .offset:         72
        .size:           8
        .value_kind:     by_value
      - .address_space:  global
        .offset:         80
        .size:           8
        .value_kind:     global_buffer
      - .offset:         88
        .size:           8
        .value_kind:     by_value
      - .offset:         96
        .size:           4
        .value_kind:     by_value
      - .offset:         100
        .size:           1
        .value_kind:     by_value
    .group_segment_fixed_size: 24576
    .kernarg_segment_align: 8
    .kernarg_segment_size: 104
    .language:       OpenCL C
    .language_version:
      - 2
      - 0
    .max_flat_workgroup_size: 1024
    .name:           _ZN9rocsparseL33gebsrmm_large_blockdim_kernel_extILi32ELi32ELi2EdEEv20rocsparse_direction_20rocsparse_operation_iiNS_24const_host_device_scalarIT2_EEPKiS7_PKS4_iiS9_lS5_PS4_l21rocsparse_index_base_b
    .private_segment_fixed_size: 0
    .sgpr_count:     40
    .sgpr_spill_count: 0
    .symbol:         _ZN9rocsparseL33gebsrmm_large_blockdim_kernel_extILi32ELi32ELi2EdEEv20rocsparse_direction_20rocsparse_operation_iiNS_24const_host_device_scalarIT2_EEPKiS7_PKS4_iiS9_lS5_PS4_l21rocsparse_index_base_b.kd
    .uniform_work_group_size: 1
    .uses_dynamic_stack: false
    .vgpr_count:     43
    .vgpr_spill_count: 0
    .wavefront_size: 32
    .workgroup_processor_mode: 1
  - .args:
      - .offset:         0
        .size:           4
        .value_kind:     by_value
      - .offset:         4
        .size:           4
        .value_kind:     by_value
      - .offset:         8
        .size:           4
        .value_kind:     by_value
      - .offset:         12
        .size:           4
        .value_kind:     by_value
      - .offset:         16
        .size:           8
        .value_kind:     by_value
      - .actual_access:  read_only
        .address_space:  global
        .offset:         24
        .size:           8
        .value_kind:     global_buffer
      - .actual_access:  read_only
        .address_space:  global
        .offset:         32
        .size:           8
        .value_kind:     global_buffer
      - .actual_access:  read_only
        .address_space:  global
        .offset:         40
        .size:           8
        .value_kind:     global_buffer
      - .offset:         48
        .size:           4
        .value_kind:     by_value
      - .offset:         52
        .size:           4
        .value_kind:     by_value
      - .actual_access:  read_only
        .address_space:  global
        .offset:         56
        .size:           8
        .value_kind:     global_buffer
      - .offset:         64
        .size:           8
        .value_kind:     by_value
      - .offset:         72
        .size:           8
        .value_kind:     by_value
      - .address_space:  global
        .offset:         80
        .size:           8
        .value_kind:     global_buffer
      - .offset:         88
        .size:           8
        .value_kind:     by_value
      - .offset:         96
        .size:           4
        .value_kind:     by_value
      - .offset:         100
        .size:           1
        .value_kind:     by_value
    .group_segment_fixed_size: 1536
    .kernarg_segment_align: 8
    .kernarg_segment_size: 104
    .language:       OpenCL C
    .language_version:
      - 2
      - 0
    .max_flat_workgroup_size: 64
    .name:           _ZN9rocsparseL33gebsrmm_large_blockdim_kernel_extILi8ELi8ELi2E21rocsparse_complex_numIfEEEv20rocsparse_direction_20rocsparse_operation_iiNS_24const_host_device_scalarIT2_EEPKiS9_PKS6_iiSB_lS7_PS6_l21rocsparse_index_base_b
    .private_segment_fixed_size: 0
    .sgpr_count:     40
    .sgpr_spill_count: 0
    .symbol:         _ZN9rocsparseL33gebsrmm_large_blockdim_kernel_extILi8ELi8ELi2E21rocsparse_complex_numIfEEEv20rocsparse_direction_20rocsparse_operation_iiNS_24const_host_device_scalarIT2_EEPKiS9_PKS6_iiSB_lS7_PS6_l21rocsparse_index_base_b.kd
    .uniform_work_group_size: 1
    .uses_dynamic_stack: false
    .vgpr_count:     45
    .vgpr_spill_count: 0
    .wavefront_size: 32
    .workgroup_processor_mode: 1
  - .args:
      - .offset:         0
        .size:           4
        .value_kind:     by_value
      - .offset:         4
        .size:           4
        .value_kind:     by_value
      - .offset:         8
        .size:           4
        .value_kind:     by_value
      - .offset:         12
        .size:           4
        .value_kind:     by_value
      - .offset:         16
        .size:           8
        .value_kind:     by_value
      - .actual_access:  read_only
        .address_space:  global
        .offset:         24
        .size:           8
        .value_kind:     global_buffer
      - .actual_access:  read_only
        .address_space:  global
        .offset:         32
        .size:           8
        .value_kind:     global_buffer
      - .actual_access:  read_only
        .address_space:  global
        .offset:         40
        .size:           8
        .value_kind:     global_buffer
      - .offset:         48
        .size:           4
        .value_kind:     by_value
      - .offset:         52
        .size:           4
        .value_kind:     by_value
      - .actual_access:  read_only
        .address_space:  global
        .offset:         56
        .size:           8
        .value_kind:     global_buffer
      - .offset:         64
        .size:           8
        .value_kind:     by_value
      - .offset:         72
        .size:           8
        .value_kind:     by_value
      - .address_space:  global
        .offset:         80
        .size:           8
        .value_kind:     global_buffer
      - .offset:         88
        .size:           8
        .value_kind:     by_value
      - .offset:         96
        .size:           4
        .value_kind:     by_value
      - .offset:         100
        .size:           1
        .value_kind:     by_value
    .group_segment_fixed_size: 6144
    .kernarg_segment_align: 8
    .kernarg_segment_size: 104
    .language:       OpenCL C
    .language_version:
      - 2
      - 0
    .max_flat_workgroup_size: 256
    .name:           _ZN9rocsparseL33gebsrmm_large_blockdim_kernel_extILi16ELi16ELi2E21rocsparse_complex_numIfEEEv20rocsparse_direction_20rocsparse_operation_iiNS_24const_host_device_scalarIT2_EEPKiS9_PKS6_iiSB_lS7_PS6_l21rocsparse_index_base_b
    .private_segment_fixed_size: 0
    .sgpr_count:     40
    .sgpr_spill_count: 0
    .symbol:         _ZN9rocsparseL33gebsrmm_large_blockdim_kernel_extILi16ELi16ELi2E21rocsparse_complex_numIfEEEv20rocsparse_direction_20rocsparse_operation_iiNS_24const_host_device_scalarIT2_EEPKiS9_PKS6_iiSB_lS7_PS6_l21rocsparse_index_base_b.kd
    .uniform_work_group_size: 1
    .uses_dynamic_stack: false
    .vgpr_count:     45
    .vgpr_spill_count: 0
    .wavefront_size: 32
    .workgroup_processor_mode: 1
  - .args:
      - .offset:         0
        .size:           4
        .value_kind:     by_value
      - .offset:         4
        .size:           4
        .value_kind:     by_value
      - .offset:         8
        .size:           4
        .value_kind:     by_value
      - .offset:         12
        .size:           4
        .value_kind:     by_value
      - .offset:         16
        .size:           8
        .value_kind:     by_value
      - .actual_access:  read_only
        .address_space:  global
        .offset:         24
        .size:           8
        .value_kind:     global_buffer
      - .actual_access:  read_only
        .address_space:  global
        .offset:         32
        .size:           8
        .value_kind:     global_buffer
      - .actual_access:  read_only
        .address_space:  global
        .offset:         40
        .size:           8
        .value_kind:     global_buffer
      - .offset:         48
        .size:           4
        .value_kind:     by_value
      - .offset:         52
        .size:           4
        .value_kind:     by_value
      - .actual_access:  read_only
        .address_space:  global
        .offset:         56
        .size:           8
        .value_kind:     global_buffer
      - .offset:         64
        .size:           8
        .value_kind:     by_value
      - .offset:         72
        .size:           8
        .value_kind:     by_value
      - .address_space:  global
        .offset:         80
        .size:           8
        .value_kind:     global_buffer
      - .offset:         88
        .size:           8
        .value_kind:     by_value
      - .offset:         96
        .size:           4
        .value_kind:     by_value
      - .offset:         100
        .size:           1
        .value_kind:     by_value
    .group_segment_fixed_size: 24576
    .kernarg_segment_align: 8
    .kernarg_segment_size: 104
    .language:       OpenCL C
    .language_version:
      - 2
      - 0
    .max_flat_workgroup_size: 1024
    .name:           _ZN9rocsparseL33gebsrmm_large_blockdim_kernel_extILi32ELi32ELi2E21rocsparse_complex_numIfEEEv20rocsparse_direction_20rocsparse_operation_iiNS_24const_host_device_scalarIT2_EEPKiS9_PKS6_iiSB_lS7_PS6_l21rocsparse_index_base_b
    .private_segment_fixed_size: 0
    .sgpr_count:     40
    .sgpr_spill_count: 0
    .symbol:         _ZN9rocsparseL33gebsrmm_large_blockdim_kernel_extILi32ELi32ELi2E21rocsparse_complex_numIfEEEv20rocsparse_direction_20rocsparse_operation_iiNS_24const_host_device_scalarIT2_EEPKiS9_PKS6_iiSB_lS7_PS6_l21rocsparse_index_base_b.kd
    .uniform_work_group_size: 1
    .uses_dynamic_stack: false
    .vgpr_count:     45
    .vgpr_spill_count: 0
    .wavefront_size: 32
    .workgroup_processor_mode: 1
  - .args:
      - .offset:         0
        .size:           4
        .value_kind:     by_value
      - .offset:         4
        .size:           4
        .value_kind:     by_value
      - .offset:         8
        .size:           4
        .value_kind:     by_value
      - .offset:         12
        .size:           4
        .value_kind:     by_value
      - .offset:         16
        .size:           16
        .value_kind:     by_value
      - .actual_access:  read_only
        .address_space:  global
        .offset:         32
        .size:           8
        .value_kind:     global_buffer
      - .actual_access:  read_only
        .address_space:  global
        .offset:         40
        .size:           8
        .value_kind:     global_buffer
      - .actual_access:  read_only
        .address_space:  global
        .offset:         48
        .size:           8
        .value_kind:     global_buffer
      - .offset:         56
        .size:           4
        .value_kind:     by_value
      - .offset:         60
        .size:           4
        .value_kind:     by_value
      - .actual_access:  read_only
        .address_space:  global
        .offset:         64
        .size:           8
        .value_kind:     global_buffer
      - .offset:         72
        .size:           8
        .value_kind:     by_value
      - .offset:         80
        .size:           16
        .value_kind:     by_value
      - .address_space:  global
        .offset:         96
        .size:           8
        .value_kind:     global_buffer
      - .offset:         104
        .size:           8
        .value_kind:     by_value
      - .offset:         112
        .size:           4
        .value_kind:     by_value
      - .offset:         116
        .size:           1
        .value_kind:     by_value
    .group_segment_fixed_size: 4096
    .kernarg_segment_align: 8
    .kernarg_segment_size: 120
    .language:       OpenCL C
    .language_version:
      - 2
      - 0
    .max_flat_workgroup_size: 64
    .name:           _ZN9rocsparseL33gebsrmm_large_blockdim_kernel_extILi8ELi8ELi2E21rocsparse_complex_numIdEEEv20rocsparse_direction_20rocsparse_operation_iiNS_24const_host_device_scalarIT2_EEPKiS9_PKS6_iiSB_lS7_PS6_l21rocsparse_index_base_b
    .private_segment_fixed_size: 0
    .sgpr_count:     40
    .sgpr_spill_count: 0
    .symbol:         _ZN9rocsparseL33gebsrmm_large_blockdim_kernel_extILi8ELi8ELi2E21rocsparse_complex_numIdEEEv20rocsparse_direction_20rocsparse_operation_iiNS_24const_host_device_scalarIT2_EEPKiS9_PKS6_iiSB_lS7_PS6_l21rocsparse_index_base_b.kd
    .uniform_work_group_size: 1
    .uses_dynamic_stack: false
    .vgpr_count:     55
    .vgpr_spill_count: 0
    .wavefront_size: 32
    .workgroup_processor_mode: 1
  - .args:
      - .offset:         0
        .size:           4
        .value_kind:     by_value
      - .offset:         4
        .size:           4
        .value_kind:     by_value
      - .offset:         8
        .size:           4
        .value_kind:     by_value
      - .offset:         12
        .size:           4
        .value_kind:     by_value
      - .offset:         16
        .size:           16
        .value_kind:     by_value
      - .actual_access:  read_only
        .address_space:  global
        .offset:         32
        .size:           8
        .value_kind:     global_buffer
      - .actual_access:  read_only
        .address_space:  global
        .offset:         40
        .size:           8
        .value_kind:     global_buffer
      - .actual_access:  read_only
        .address_space:  global
        .offset:         48
        .size:           8
        .value_kind:     global_buffer
      - .offset:         56
        .size:           4
        .value_kind:     by_value
      - .offset:         60
        .size:           4
        .value_kind:     by_value
      - .actual_access:  read_only
        .address_space:  global
        .offset:         64
        .size:           8
        .value_kind:     global_buffer
      - .offset:         72
        .size:           8
        .value_kind:     by_value
      - .offset:         80
        .size:           16
        .value_kind:     by_value
      - .address_space:  global
        .offset:         96
        .size:           8
        .value_kind:     global_buffer
      - .offset:         104
        .size:           8
        .value_kind:     by_value
      - .offset:         112
        .size:           4
        .value_kind:     by_value
      - .offset:         116
        .size:           1
        .value_kind:     by_value
    .group_segment_fixed_size: 16384
    .kernarg_segment_align: 8
    .kernarg_segment_size: 120
    .language:       OpenCL C
    .language_version:
      - 2
      - 0
    .max_flat_workgroup_size: 256
    .name:           _ZN9rocsparseL33gebsrmm_large_blockdim_kernel_extILi16ELi16ELi2E21rocsparse_complex_numIdEEEv20rocsparse_direction_20rocsparse_operation_iiNS_24const_host_device_scalarIT2_EEPKiS9_PKS6_iiSB_lS7_PS6_l21rocsparse_index_base_b
    .private_segment_fixed_size: 0
    .sgpr_count:     40
    .sgpr_spill_count: 0
    .symbol:         _ZN9rocsparseL33gebsrmm_large_blockdim_kernel_extILi16ELi16ELi2E21rocsparse_complex_numIdEEEv20rocsparse_direction_20rocsparse_operation_iiNS_24const_host_device_scalarIT2_EEPKiS9_PKS6_iiSB_lS7_PS6_l21rocsparse_index_base_b.kd
    .uniform_work_group_size: 1
    .uses_dynamic_stack: false
    .vgpr_count:     55
    .vgpr_spill_count: 0
    .wavefront_size: 32
    .workgroup_processor_mode: 1
  - .args:
      - .offset:         0
        .size:           4
        .value_kind:     by_value
      - .offset:         4
        .size:           4
        .value_kind:     by_value
      - .offset:         8
        .size:           4
        .value_kind:     by_value
      - .offset:         12
        .size:           4
        .value_kind:     by_value
      - .offset:         16
        .size:           16
        .value_kind:     by_value
      - .actual_access:  read_only
        .address_space:  global
        .offset:         32
        .size:           8
        .value_kind:     global_buffer
      - .actual_access:  read_only
        .address_space:  global
        .offset:         40
        .size:           8
        .value_kind:     global_buffer
      - .actual_access:  read_only
        .address_space:  global
        .offset:         48
        .size:           8
        .value_kind:     global_buffer
      - .offset:         56
        .size:           4
        .value_kind:     by_value
      - .offset:         60
        .size:           4
        .value_kind:     by_value
      - .actual_access:  read_only
        .address_space:  global
        .offset:         64
        .size:           8
        .value_kind:     global_buffer
      - .offset:         72
        .size:           8
        .value_kind:     by_value
      - .offset:         80
        .size:           16
        .value_kind:     by_value
      - .address_space:  global
        .offset:         96
        .size:           8
        .value_kind:     global_buffer
      - .offset:         104
        .size:           8
        .value_kind:     by_value
      - .offset:         112
        .size:           4
        .value_kind:     by_value
      - .offset:         116
        .size:           1
        .value_kind:     by_value
    .group_segment_fixed_size: 65536
    .kernarg_segment_align: 8
    .kernarg_segment_size: 120
    .language:       OpenCL C
    .language_version:
      - 2
      - 0
    .max_flat_workgroup_size: 1024
    .name:           _ZN9rocsparseL33gebsrmm_large_blockdim_kernel_extILi32ELi32ELi2E21rocsparse_complex_numIdEEEv20rocsparse_direction_20rocsparse_operation_iiNS_24const_host_device_scalarIT2_EEPKiS9_PKS6_iiSB_lS7_PS6_l21rocsparse_index_base_b
    .private_segment_fixed_size: 0
    .sgpr_count:     40
    .sgpr_spill_count: 0
    .symbol:         _ZN9rocsparseL33gebsrmm_large_blockdim_kernel_extILi32ELi32ELi2E21rocsparse_complex_numIdEEEv20rocsparse_direction_20rocsparse_operation_iiNS_24const_host_device_scalarIT2_EEPKiS9_PKS6_iiSB_lS7_PS6_l21rocsparse_index_base_b.kd
    .uniform_work_group_size: 1
    .uses_dynamic_stack: false
    .vgpr_count:     55
    .vgpr_spill_count: 0
    .wavefront_size: 32
    .workgroup_processor_mode: 1
amdhsa.target:   amdgcn-amd-amdhsa--gfx1100
amdhsa.version:
  - 1
  - 2
...

	.end_amdgpu_metadata
